;; amdgpu-corpus repo=ROCm/rocFFT kind=compiled arch=gfx1030 opt=O3
	.text
	.amdgcn_target "amdgcn-amd-amdhsa--gfx1030"
	.amdhsa_code_object_version 6
	.protected	bluestein_single_fwd_len1989_dim1_sp_op_CI_CI ; -- Begin function bluestein_single_fwd_len1989_dim1_sp_op_CI_CI
	.globl	bluestein_single_fwd_len1989_dim1_sp_op_CI_CI
	.p2align	8
	.type	bluestein_single_fwd_len1989_dim1_sp_op_CI_CI,@function
bluestein_single_fwd_len1989_dim1_sp_op_CI_CI: ; @bluestein_single_fwd_len1989_dim1_sp_op_CI_CI
; %bb.0:
	s_load_dwordx4 s[0:3], s[4:5], 0x28
	v_mul_u32_u24_e32 v1, 0x1ad, v0
	v_mov_b32_e32 v93, 0
	v_lshrrev_b32_e32 v1, 16, v1
	v_add_nc_u32_e32 v92, s6, v1
	s_waitcnt lgkmcnt(0)
	v_cmp_gt_u64_e32 vcc_lo, s[0:1], v[92:93]
	s_and_saveexec_b32 s0, vcc_lo
	s_cbranch_execz .LBB0_23
; %bb.1:
	s_clause 0x1
	s_load_dwordx2 s[12:13], s[4:5], 0x0
	s_load_dwordx2 s[14:15], s[4:5], 0x38
	v_mul_lo_u16 v1, 0x99, v1
	v_sub_nc_u16 v0, v0, v1
	v_and_b32_e32 v102, 0xffff, v0
	v_cmp_gt_u16_e32 vcc_lo, 0x75, v0
	v_lshlrev_b32_e32 v101, 3, v102
	s_and_saveexec_b32 s1, vcc_lo
	s_cbranch_execz .LBB0_3
; %bb.2:
	s_load_dwordx2 s[6:7], s[4:5], 0x18
	s_waitcnt lgkmcnt(0)
	v_add_co_u32 v25, s0, s12, v101
	v_add_co_ci_u32_e64 v26, null, s13, 0, s0
	v_add_nc_u32_e32 v70, 0x400, v101
	v_add_co_u32 v6, s0, 0x800, v25
	v_add_co_ci_u32_e64 v7, s0, 0, v26, s0
	v_add_co_u32 v8, s0, 0x1000, v25
	v_add_co_ci_u32_e64 v9, s0, 0, v26, s0
	;; [unrolled: 2-line block ×3, first 2 shown]
	v_add_co_u32 v16, s0, 0x2000, v25
	s_load_dwordx4 s[8:11], s[6:7], 0x0
	v_add_co_ci_u32_e64 v17, s0, 0, v26, s0
	v_add_co_u32 v18, s0, 0x2800, v25
	v_add_co_ci_u32_e64 v19, s0, 0, v26, s0
	s_clause 0x2
	global_load_dwordx2 v[0:1], v101, s[12:13]
	global_load_dwordx2 v[2:3], v101, s[12:13] offset:936
	global_load_dwordx2 v[4:5], v101, s[12:13] offset:1872
	v_add_nc_u32_e32 v71, 0xc00, v101
	v_add_nc_u32_e32 v72, 0x1400, v101
	;; [unrolled: 1-line block ×6, first 2 shown]
	s_waitcnt lgkmcnt(0)
	v_mad_u64_u32 v[10:11], null, s10, v92, 0
	v_mad_u64_u32 v[14:15], null, s8, v102, 0
	s_mul_i32 s6, s9, 0x3a8
	s_mul_hi_u32 s7, s8, 0x3a8
	s_add_i32 s7, s7, s6
	v_mad_u64_u32 v[20:21], null, s11, v92, v[11:12]
	v_mad_u64_u32 v[23:24], null, s9, v102, v[15:16]
	v_add_co_u32 v21, s0, 0x3000, v25
	v_add_co_ci_u32_e64 v22, s0, 0, v26, s0
	v_mov_b32_e32 v11, v20
	v_add_co_u32 v24, s0, 0x3800, v25
	v_mov_b32_e32 v15, v23
	v_add_co_ci_u32_e64 v25, s0, 0, v26, s0
	v_lshlrev_b64 v[10:11], 3, v[10:11]
	s_clause 0x3
	global_load_dwordx2 v[26:27], v[6:7], off offset:760
	global_load_dwordx2 v[6:7], v[6:7], off offset:1696
	;; [unrolled: 1-line block ×4, first 2 shown]
	v_lshlrev_b64 v[14:15], 3, v[14:15]
	s_clause 0x6
	global_load_dwordx2 v[30:31], v[12:13], off offset:408
	global_load_dwordx2 v[12:13], v[12:13], off offset:1344
	;; [unrolled: 1-line block ×7, first 2 shown]
	v_add_co_u32 v10, s0, s2, v10
	v_add_co_ci_u32_e64 v11, s0, s3, v11, s0
	s_mul_i32 s2, s8, 0x3a8
	v_add_co_u32 v10, s0, v10, v14
	v_add_co_ci_u32_e64 v11, s0, v11, v15, s0
	global_load_dwordx2 v[42:43], v[21:22], off offset:816
	v_add_co_u32 v14, s0, v10, s2
	v_add_co_ci_u32_e64 v15, s0, s7, v11, s0
	v_add_co_u32 v34, s0, v14, s2
	v_add_co_ci_u32_e64 v35, s0, s7, v15, s0
	;; [unrolled: 2-line block ×4, first 2 shown]
	s_clause 0x3
	global_load_dwordx2 v[10:11], v[10:11], off
	global_load_dwordx2 v[14:15], v[14:15], off
	;; [unrolled: 1-line block ×4, first 2 shown]
	v_add_co_u32 v46, s0, v44, s2
	v_add_co_ci_u32_e64 v47, s0, s7, v45, s0
	global_load_dwordx2 v[44:45], v[44:45], off
	v_add_co_u32 v48, s0, v46, s2
	v_add_co_ci_u32_e64 v49, s0, s7, v47, s0
	global_load_dwordx2 v[46:47], v[46:47], off
	;; [unrolled: 3-line block ×11, first 2 shown]
	v_add_co_u32 v68, s0, v66, s2
	v_add_co_ci_u32_e64 v69, s0, s7, v67, s0
	global_load_dwordx2 v[20:21], v[21:22], off offset:1752
	global_load_dwordx2 v[22:23], v[66:67], off
	global_load_dwordx2 v[24:25], v[24:25], off offset:640
	global_load_dwordx2 v[66:67], v[68:69], off
	s_waitcnt vmcnt(18)
	v_mul_f32_e32 v68, v11, v1
	v_mul_f32_e32 v69, v10, v1
	s_waitcnt vmcnt(17)
	v_mul_f32_e32 v1, v15, v3
	v_fmac_f32_e32 v68, v10, v0
	v_fma_f32 v69, v11, v0, -v69
	v_mul_f32_e32 v0, v14, v3
	s_waitcnt vmcnt(16)
	v_mul_f32_e32 v3, v35, v5
	v_mul_f32_e32 v5, v34, v5
	s_waitcnt vmcnt(15)
	v_mul_f32_e32 v10, v41, v27
	v_mul_f32_e32 v11, v40, v27
	v_fmac_f32_e32 v1, v14, v2
	v_fma_f32 v2, v15, v2, -v0
	v_fmac_f32_e32 v3, v34, v4
	v_fma_f32 v4, v35, v4, -v5
	;; [unrolled: 2-line block ×3, first 2 shown]
	s_waitcnt vmcnt(14)
	v_mul_f32_e32 v0, v45, v7
	v_mul_f32_e32 v5, v44, v7
	ds_write2_b64 v101, v[68:69], v[1:2] offset1:117
	s_waitcnt vmcnt(13)
	v_mul_f32_e32 v2, v47, v29
	ds_write2_b64 v70, v[3:4], v[10:11] offset0:106 offset1:223
	v_mul_f32_e32 v3, v46, v29
	v_fmac_f32_e32 v0, v44, v6
	v_fma_f32 v1, v45, v6, -v5
	s_waitcnt vmcnt(12)
	v_mul_f32_e32 v4, v49, v9
	v_mul_f32_e32 v5, v48, v9
	s_waitcnt vmcnt(11)
	v_mul_f32_e32 v6, v51, v31
	v_mul_f32_e32 v7, v50, v31
	v_fmac_f32_e32 v2, v46, v28
	v_fma_f32 v3, v47, v28, -v3
	v_fmac_f32_e32 v4, v48, v8
	v_fma_f32 v5, v49, v8, -v5
	;; [unrolled: 2-line block ×3, first 2 shown]
	s_waitcnt vmcnt(10)
	v_mul_f32_e32 v8, v53, v13
	v_mul_f32_e32 v9, v52, v13
	ds_write2_b64 v71, v[0:1], v[2:3] offset0:84 offset1:201
	s_waitcnt vmcnt(8)
	v_mul_f32_e32 v2, v57, v17
	v_mul_f32_e32 v3, v56, v17
	;; [unrolled: 1-line block ×4, first 2 shown]
	ds_write2_b64 v72, v[4:5], v[6:7] offset0:62 offset1:179
	s_waitcnt vmcnt(7)
	v_mul_f32_e32 v4, v59, v37
	v_mul_f32_e32 v5, v58, v37
	v_fmac_f32_e32 v8, v52, v12
	v_fma_f32 v9, v53, v12, -v9
	s_waitcnt vmcnt(6)
	v_mul_f32_e32 v6, v61, v39
	v_mul_f32_e32 v7, v60, v39
	v_fmac_f32_e32 v2, v56, v16
	v_fma_f32 v3, v57, v16, -v3
	v_fmac_f32_e32 v0, v54, v32
	s_waitcnt vmcnt(5)
	v_mul_f32_e32 v10, v63, v19
	v_mul_f32_e32 v11, v62, v19
	v_fma_f32 v1, v55, v32, -v1
	v_fmac_f32_e32 v4, v58, v36
	v_fma_f32 v5, v59, v36, -v5
	s_waitcnt vmcnt(4)
	v_mul_f32_e32 v12, v65, v43
	v_mul_f32_e32 v13, v64, v43
	v_fmac_f32_e32 v6, v60, v38
	s_waitcnt vmcnt(2)
	v_mul_f32_e32 v14, v23, v21
	v_mul_f32_e32 v15, v22, v21
	s_waitcnt vmcnt(0)
	v_mul_f32_e32 v16, v67, v25
	v_mul_f32_e32 v17, v66, v25
	v_fma_f32 v7, v61, v38, -v7
	v_fmac_f32_e32 v10, v62, v18
	v_fma_f32 v11, v63, v18, -v11
	v_fmac_f32_e32 v12, v64, v42
	;; [unrolled: 2-line block ×4, first 2 shown]
	v_fma_f32 v17, v67, v24, -v17
	ds_write2_b64 v73, v[8:9], v[0:1] offset0:40 offset1:157
	ds_write2_b64 v74, v[2:3], v[4:5] offset0:18 offset1:135
	ds_write2_b64 v75, v[6:7], v[10:11] offset0:124 offset1:241
	ds_write2_b64 v76, v[12:13], v[14:15] offset0:102 offset1:219
	ds_write_b64 v101, v[16:17] offset:14976
.LBB0_3:
	s_or_b32 exec_lo, exec_lo, s1
	s_clause 0x1
	s_load_dwordx2 s[0:1], s[4:5], 0x20
	s_load_dwordx2 s[2:3], s[4:5], 0x8
	v_mov_b32_e32 v0, 0
	v_mov_b32_e32 v1, 0
	s_waitcnt lgkmcnt(0)
	s_barrier
	buffer_gl0_inv
                                        ; implicit-def: $vgpr4
                                        ; implicit-def: $vgpr32
                                        ; implicit-def: $vgpr10
                                        ; implicit-def: $vgpr14
                                        ; implicit-def: $vgpr22
                                        ; implicit-def: $vgpr30
                                        ; implicit-def: $vgpr18
                                        ; implicit-def: $vgpr26
	s_and_saveexec_b32 s4, vcc_lo
	s_cbranch_execz .LBB0_5
; %bb.4:
	v_add_nc_u32_e32 v4, 0x400, v101
	v_add_nc_u32_e32 v5, 0xc00, v101
	;; [unrolled: 1-line block ×3, first 2 shown]
	ds_read2_b64 v[0:3], v101 offset1:117
	v_add_nc_u32_e32 v7, 0x2800, v101
	ds_read2_b64 v[24:27], v4 offset0:106 offset1:223
	ds_read2_b64 v[16:19], v5 offset0:84 offset1:201
	v_add_nc_u32_e32 v4, 0x1c00, v101
	v_add_nc_u32_e32 v5, 0x2400, v101
	;; [unrolled: 1-line block ×3, first 2 shown]
	ds_read2_b64 v[28:31], v6 offset0:62 offset1:179
	ds_read2_b64 v[20:23], v4 offset0:40 offset1:157
	;; [unrolled: 1-line block ×5, first 2 shown]
	ds_read_b64 v[32:33], v101 offset:14976
.LBB0_5:
	s_or_b32 exec_lo, exec_lo, s4
	s_waitcnt lgkmcnt(0)
	v_sub_f32_e32 v38, v3, v33
	v_sub_f32_e32 v82, v2, v32
	v_add_f32_e32 v60, v32, v2
	v_sub_f32_e32 v40, v25, v7
	v_add_f32_e32 v61, v33, v3
	v_mul_f32_e32 v42, 0xbeb8f4ab, v38
	v_mul_f32_e32 v43, 0xbeb8f4ab, v82
	v_add_f32_e32 v63, v6, v24
	v_sub_f32_e32 v98, v24, v6
	v_mul_f32_e32 v44, 0xbf2c7751, v40
	v_fmamk_f32 v34, v60, 0x3f6eb680, v42
	v_sub_f32_e32 v41, v27, v5
	v_fma_f32 v35, 0x3f6eb680, v61, -v43
	v_add_f32_e32 v64, v7, v25
	v_mul_f32_e32 v45, 0xbf2c7751, v98
	v_add_f32_e32 v34, v34, v0
	v_fmamk_f32 v36, v63, 0x3f3d2fb0, v44
	v_sub_f32_e32 v103, v26, v4
	v_add_f32_e32 v65, v4, v26
	v_mul_f32_e32 v46, 0xbf65296c, v41
	v_sub_f32_e32 v141, v17, v11
	v_add_f32_e32 v35, v35, v1
	v_fma_f32 v37, 0x3f3d2fb0, v64, -v45
	v_add_f32_e32 v34, v36, v34
	v_add_f32_e32 v66, v5, v27
	v_mul_f32_e32 v47, 0xbf65296c, v103
	v_fmamk_f32 v36, v65, 0x3ee437d1, v46
	v_sub_f32_e32 v104, v16, v10
	v_add_f32_e32 v67, v10, v16
	v_mul_f32_e32 v48, 0xbf7ee86f, v141
	v_sub_f32_e32 v143, v19, v9
	v_add_f32_e32 v35, v37, v35
	v_fma_f32 v37, 0x3ee437d1, v66, -v47
	v_add_f32_e32 v68, v11, v17
	v_mul_f32_e32 v49, 0xbf7ee86f, v104
	v_add_f32_e32 v34, v36, v34
	v_fmamk_f32 v36, v67, 0x3dbcf732, v48
	v_sub_f32_e32 v105, v18, v8
	v_add_f32_e32 v69, v8, v18
	v_mul_f32_e32 v50, 0xbf763a35, v143
	v_sub_f32_e32 v142, v29, v15
	v_add_f32_e32 v35, v37, v35
	v_fma_f32 v37, 0x3dbcf732, v68, -v49
	v_add_f32_e32 v34, v36, v34
	v_add_f32_e32 v70, v9, v19
	v_mul_f32_e32 v51, 0xbf763a35, v105
	v_fmamk_f32 v36, v69, 0xbe8c1d8e, v50
	v_sub_f32_e32 v108, v28, v14
	v_add_f32_e32 v71, v14, v28
	v_mul_f32_e32 v52, 0xbf4c4adb, v142
	v_sub_f32_e32 v144, v31, v13
	v_mul_f32_e32 v54, 0xbf2c7751, v38
	v_add_f32_e32 v35, v37, v35
	v_fma_f32 v37, 0xbe8c1d8e, v70, -v51
	v_add_f32_e32 v73, v15, v29
	v_mul_f32_e32 v53, 0xbf4c4adb, v108
	v_add_f32_e32 v34, v36, v34
	v_fmamk_f32 v36, v71, 0xbf1a4643, v52
	v_sub_f32_e32 v111, v30, v12
	v_add_f32_e32 v75, v12, v30
	v_mul_f32_e32 v55, 0xbf06c442, v144
	v_mul_f32_e32 v96, 0xbf2c7751, v82
	v_add_f32_e32 v35, v37, v35
	v_fma_f32 v37, 0xbf1a4643, v73, -v53
	v_add_f32_e32 v34, v36, v34
	v_add_f32_e32 v77, v13, v31
	v_mul_f32_e32 v58, 0xbf06c442, v111
	v_fmamk_f32 v36, v75, 0xbf59a7d5, v55
	v_fmamk_f32 v39, v60, 0x3f3d2fb0, v54
	v_mul_f32_e32 v80, 0xbf7ee86f, v40
	v_fma_f32 v56, 0x3f3d2fb0, v61, -v96
	v_mul_f32_e32 v99, 0xbf7ee86f, v98
	v_add_f32_e32 v35, v37, v35
	v_fma_f32 v37, 0xbf59a7d5, v77, -v58
	v_add_f32_e32 v34, v36, v34
	v_add_f32_e32 v36, v39, v0
	v_fmamk_f32 v39, v63, 0x3dbcf732, v80
	v_add_f32_e32 v56, v56, v1
	v_fma_f32 v57, 0x3dbcf732, v64, -v99
	v_mul_f32_e32 v83, 0xbf4c4adb, v41
	v_mul_f32_e32 v93, 0xbf4c4adb, v103
	v_sub_f32_e32 v145, v21, v23
	v_add_f32_e32 v35, v37, v35
	v_add_f32_e32 v36, v39, v36
	;; [unrolled: 1-line block ×3, first 2 shown]
	v_fmamk_f32 v39, v65, 0xbf1a4643, v83
	v_fma_f32 v56, 0xbf1a4643, v66, -v93
	v_mul_f32_e32 v90, 0xbe3c28d5, v141
	v_mul_f32_e32 v94, 0xbe3c28d5, v104
	v_sub_f32_e32 v115, v20, v22
	v_add_f32_e32 v76, v22, v20
	v_mul_f32_e32 v59, 0xbe3c28d5, v145
	v_add_f32_e32 v36, v39, v36
	v_add_f32_e32 v37, v56, v37
	v_fmamk_f32 v39, v67, 0xbf7ba420, v90
	v_fma_f32 v56, 0xbf7ba420, v68, -v94
	v_mul_f32_e32 v91, 0x3f06c442, v143
	v_mul_f32_e32 v95, 0x3f06c442, v105
	v_add_f32_e32 v79, v23, v21
	v_mul_f32_e32 v62, 0xbe3c28d5, v115
	v_fmamk_f32 v57, v76, 0xbf7ba420, v59
	v_add_f32_e32 v36, v39, v36
	v_add_f32_e32 v37, v56, v37
	v_fmamk_f32 v39, v69, 0xbf59a7d5, v91
	v_fma_f32 v74, 0xbf59a7d5, v70, -v95
	v_mul_f32_e32 v72, 0x3f763a35, v142
	v_mul_f32_e32 v97, 0x3f763a35, v108
	v_fma_f32 v78, 0xbf7ba420, v79, -v62
	v_add_f32_e32 v56, v57, v34
	v_add_f32_e32 v34, v39, v36
	v_add_f32_e32 v36, v74, v37
	v_fmamk_f32 v37, v71, 0xbe8c1d8e, v72
	v_fma_f32 v39, 0xbe8c1d8e, v73, -v97
	v_mul_f32_e32 v74, 0x3f65296c, v144
	v_mul_f32_e32 v109, 0xbf65296c, v38
	v_add_f32_e32 v57, v78, v35
	v_add_f32_e32 v34, v37, v34
	;; [unrolled: 1-line block ×3, first 2 shown]
	v_fmamk_f32 v36, v75, 0x3ee437d1, v74
	v_mul_f32_e32 v78, 0x3f65296c, v111
	v_fmamk_f32 v37, v60, 0x3ee437d1, v109
	v_mul_f32_e32 v110, 0xbf4c4adb, v40
	v_mul_f32_e32 v117, 0xbf65296c, v82
	v_add_f32_e32 v34, v36, v34
	v_fma_f32 v36, 0x3ee437d1, v77, -v78
	v_add_f32_e32 v37, v37, v0
	v_fmamk_f32 v39, v63, 0xbf1a4643, v110
	v_fma_f32 v81, 0x3ee437d1, v61, -v117
	v_mul_f32_e32 v118, 0xbf4c4adb, v98
	v_mul_f32_e32 v112, 0x3e3c28d5, v41
	v_add_f32_e32 v35, v36, v35
	v_add_f32_e32 v36, v39, v37
	;; [unrolled: 1-line block ×3, first 2 shown]
	v_fma_f32 v39, 0xbf1a4643, v64, -v118
	v_fmamk_f32 v84, v65, 0xbf7ba420, v112
	v_mul_f32_e32 v119, 0x3e3c28d5, v103
	v_mul_f32_e32 v113, 0x3f763a35, v141
	;; [unrolled: 1-line block ×3, first 2 shown]
	v_add_f32_e32 v37, v39, v37
	v_add_f32_e32 v36, v84, v36
	v_fma_f32 v39, 0xbf7ba420, v66, -v119
	v_fmamk_f32 v84, v67, 0xbe8c1d8e, v113
	v_mul_f32_e32 v120, 0x3f763a35, v104
	v_mul_f32_e32 v114, 0x3f2c7751, v143
	v_fmamk_f32 v85, v76, 0x3f6eb680, v81
	v_add_f32_e32 v37, v39, v37
	v_add_f32_e32 v36, v84, v36
	v_fma_f32 v39, 0xbe8c1d8e, v68, -v120
	v_fmamk_f32 v86, v69, 0x3f3d2fb0, v114
	v_mul_f32_e32 v121, 0x3f2c7751, v105
	v_mul_f32_e32 v106, 0xbeb8f4ab, v142
	v_add_f32_e32 v84, v85, v34
	v_add_f32_e32 v34, v39, v37
	;; [unrolled: 1-line block ×3, first 2 shown]
	v_fma_f32 v37, 0x3f3d2fb0, v70, -v121
	v_fmamk_f32 v39, v71, 0x3f6eb680, v106
	v_mul_f32_e32 v122, 0xbeb8f4ab, v108
	v_mul_f32_e32 v107, 0xbf7ee86f, v144
	v_mul_f32_e32 v129, 0xbf7ee86f, v38
	v_add_f32_e32 v34, v37, v34
	v_add_f32_e32 v36, v39, v36
	v_fma_f32 v37, 0x3f6eb680, v73, -v122
	v_fmamk_f32 v39, v75, 0x3dbcf732, v107
	v_mul_f32_e32 v136, 0xbf7ee86f, v82
	v_mul_f32_e32 v130, 0xbe3c28d5, v40
	;; [unrolled: 1-line block ×3, first 2 shown]
	v_add_f32_e32 v34, v37, v34
	v_add_f32_e32 v36, v39, v36
	v_fmamk_f32 v37, v60, 0x3dbcf732, v129
	v_fma_f32 v39, 0x3dbcf732, v61, -v136
	v_fmamk_f32 v86, v63, 0xbf7ba420, v130
	v_fma_f32 v87, 0xbf7ba420, v64, -v137
	v_mul_f32_e32 v131, 0x3f763a35, v41
	v_add_f32_e32 v37, v37, v0
	v_add_f32_e32 v39, v39, v1
	v_mul_f32_e32 v138, 0x3f763a35, v103
	v_mul_f32_e32 v132, 0x3eb8f4ab, v141
	v_mul_f32_e32 v139, 0x3eb8f4ab, v104
	v_add_f32_e32 v37, v86, v37
	v_add_f32_e32 v39, v87, v39
	v_fmamk_f32 v86, v65, 0xbe8c1d8e, v131
	v_fma_f32 v87, 0xbe8c1d8e, v66, -v138
	v_mul_f32_e32 v126, 0xbf65296c, v143
	v_mul_f32_e32 v140, 0xbf65296c, v105
	v_mul_f32_e32 v127, 0xbf06c442, v142
	v_add_f32_e32 v37, v86, v37
	v_add_f32_e32 v39, v87, v39
	v_fmamk_f32 v86, v67, 0x3f6eb680, v132
	v_fma_f32 v87, 0x3f6eb680, v68, -v139
	;; [unrolled: 7-line block ×3, first 2 shown]
	v_mul_f32_e32 v133, 0x3f4c4adb, v111
	v_mul_f32_e32 v100, 0x3eb8f4ab, v115
	v_fma_f32 v88, 0x3dbcf732, v77, -v123
	v_add_f32_e32 v37, v86, v37
	v_add_f32_e32 v39, v87, v39
	v_fmamk_f32 v86, v71, 0xbf59a7d5, v127
	v_fma_f32 v87, 0xbf59a7d5, v73, -v135
	v_mul_f32_e32 v116, 0xbf06c442, v145
	v_mul_f32_e32 v124, 0xbf06c442, v115
	;; [unrolled: 1-line block ×3, first 2 shown]
	v_add_f32_e32 v37, v86, v37
	v_add_f32_e32 v39, v87, v39
	v_fmamk_f32 v86, v75, 0xbf1a4643, v128
	v_fma_f32 v87, 0xbf1a4643, v77, -v133
	v_mul_f32_e32 v134, 0x3f2c7751, v115
	v_fma_f32 v85, 0x3f6eb680, v79, -v100
	v_add_f32_e32 v34, v88, v34
	v_fmamk_f32 v88, v76, 0xbf59a7d5, v116
	v_fma_f32 v89, 0xbf59a7d5, v79, -v124
	v_add_f32_e32 v37, v86, v37
	v_add_f32_e32 v39, v87, v39
	v_fmamk_f32 v146, v76, 0x3f3d2fb0, v125
	v_fma_f32 v147, 0x3f3d2fb0, v79, -v134
	v_add_f32_e32 v85, v85, v35
	v_add_f32_e32 v86, v88, v36
	;; [unrolled: 1-line block ×5, first 2 shown]
	s_barrier
	buffer_gl0_inv
	s_and_saveexec_b32 s4, vcc_lo
	s_cbranch_execz .LBB0_7
; %bb.6:
	v_mul_f32_e32 v151, 0xbe8c1d8e, v61
	v_mul_f32_e32 v152, 0xbf763a35, v38
	;; [unrolled: 1-line block ×5, first 2 shown]
	v_fmamk_f32 v34, v82, 0x3f763a35, v151
	v_fmamk_f32 v35, v60, 0xbe8c1d8e, v152
	v_mul_f32_e32 v155, 0x3f2c7751, v41
	v_fmamk_f32 v36, v98, 0xbf06c442, v150
	v_fmamk_f32 v37, v63, 0xbf59a7d5, v153
	v_add_f32_e32 v34, v34, v1
	v_add_f32_e32 v35, v35, v0
	v_mul_f32_e32 v156, 0x3ee437d1, v68
	v_mul_f32_e32 v157, 0xbf65296c, v141
	v_fmamk_f32 v39, v103, 0xbf2c7751, v154
	v_add_f32_e32 v34, v36, v34
	v_fmamk_f32 v36, v65, 0x3f3d2fb0, v155
	v_add_f32_e32 v35, v37, v35
	v_fmamk_f32 v37, v104, 0x3f65296c, v156
	v_fmamk_f32 v146, v67, 0x3ee437d1, v157
	v_add_f32_e32 v34, v39, v34
	v_mul_f32_e32 v158, 0xbf7ba420, v70
	v_add_f32_e32 v35, v36, v35
	v_mul_f32_e32 v159, 0xbe3c28d5, v143
	v_mul_f32_e32 v160, 0x3dbcf732, v73
	v_add_f32_e32 v34, v37, v34
	v_fmamk_f32 v36, v105, 0x3e3c28d5, v158
	v_add_f32_e32 v35, v146, v35
	v_fmamk_f32 v37, v69, 0xbf7ba420, v159
	v_mul_f32_e32 v161, 0x3f7ee86f, v142
	v_mul_f32_e32 v162, 0x3f6eb680, v77
	v_add_f32_e32 v34, v36, v34
	v_fmamk_f32 v36, v108, 0xbf7ee86f, v160
	v_add_f32_e32 v35, v37, v35
	v_fmamk_f32 v37, v71, 0x3dbcf732, v161
	v_mul_f32_e32 v163, 0xbf1a4643, v61
	v_mul_f32_e32 v164, 0xbeb8f4ab, v144
	v_add_f32_e32 v34, v36, v34
	v_fmamk_f32 v36, v111, 0x3eb8f4ab, v162
	v_add_f32_e32 v35, v37, v35
	v_mul_f32_e32 v165, 0xbf1a4643, v79
	v_fmamk_f32 v37, v82, 0x3f4c4adb, v163
	v_mul_f32_e32 v166, 0xbe8c1d8e, v64
	v_add_f32_e32 v34, v36, v34
	v_fmamk_f32 v36, v75, 0x3f6eb680, v164
	v_fmamk_f32 v39, v115, 0x3f4c4adb, v165
	v_add_f32_e32 v37, v37, v1
	v_fmamk_f32 v146, v98, 0xbf763a35, v166
	v_mul_f32_e32 v167, 0x3f6eb680, v66
	v_mul_f32_e32 v168, 0xbf4c4adb, v38
	v_add_f32_e32 v36, v36, v35
	v_add_f32_e32 v35, v39, v34
	;; [unrolled: 1-line block ×3, first 2 shown]
	v_fmamk_f32 v37, v103, 0x3eb8f4ab, v167
	v_mul_f32_e32 v169, 0xbf59a7d5, v68
	v_fmamk_f32 v39, v60, 0xbf1a4643, v168
	v_mul_f32_e32 v171, 0x3f763a35, v40
	v_mul_f32_e32 v172, 0x3dbcf732, v70
	v_add_f32_e32 v34, v37, v34
	v_fmamk_f32 v37, v104, 0x3f06c442, v169
	v_add_f32_e32 v39, v39, v0
	v_fmamk_f32 v146, v63, 0xbe8c1d8e, v171
	v_mul_f32_e32 v173, 0xbeb8f4ab, v41
	v_mul_f32_e32 v174, 0x3f3d2fb0, v73
	v_add_f32_e32 v34, v37, v34
	v_fmamk_f32 v37, v105, 0xbf7ee86f, v172
	v_add_f32_e32 v39, v146, v39
	v_fmamk_f32 v146, v65, 0x3f6eb680, v173
	v_mul_f32_e32 v175, 0xbf06c442, v141
	v_mul_f32_e32 v170, 0xbf4c4adb, v145
	v_add_f32_e32 v34, v37, v34
	v_fmamk_f32 v37, v108, 0x3f2c7751, v174
	v_mul_f32_e32 v176, 0xbf7ba420, v77
	v_add_f32_e32 v39, v146, v39
	v_fmamk_f32 v146, v67, 0xbf59a7d5, v175
	v_mul_f32_e32 v177, 0x3f7ee86f, v143
	v_fmamk_f32 v147, v76, 0xbf1a4643, v170
	v_add_f32_e32 v37, v37, v34
	v_fmamk_f32 v149, v111, 0x3e3c28d5, v176
	v_add_f32_e32 v39, v146, v39
	v_fmamk_f32 v146, v69, 0x3dbcf732, v177
	v_mul_f32_e32 v148, 0xbf2c7751, v142
	v_add_f32_e32 v34, v147, v36
	v_add_f32_e32 v36, v149, v37
	v_mul_f32_e32 v149, 0xbe3c28d5, v144
	v_add_f32_e32 v37, v146, v39
	v_fmamk_f32 v39, v71, 0x3f3d2fb0, v148
	v_mul_f32_e32 v146, 0x3ee437d1, v79
	v_mul_f32_e32 v178, 0xbf59a7d5, v61
	;; [unrolled: 1-line block ×4, first 2 shown]
	v_add_f32_e32 v37, v39, v37
	v_fmamk_f32 v39, v75, 0xbf7ba420, v149
	v_fmamk_f32 v180, v115, 0xbf65296c, v146
	;; [unrolled: 1-line block ×4, first 2 shown]
	v_mul_f32_e32 v185, 0x3f65296c, v40
	v_add_f32_e32 v39, v39, v37
	v_add_f32_e32 v37, v180, v36
	v_mul_f32_e32 v180, 0xbf06c442, v38
	v_add_f32_e32 v147, v147, v1
	v_mul_f32_e32 v183, 0xbf1a4643, v68
	v_fmamk_f32 v187, v63, 0x3ee437d1, v185
	v_mul_f32_e32 v188, 0xbf7ee86f, v41
	v_fmamk_f32 v184, v60, 0xbf59a7d5, v180
	v_add_f32_e32 v36, v181, v147
	v_fmamk_f32 v181, v103, 0x3f7ee86f, v182
	v_mul_f32_e32 v186, 0x3f6eb680, v70
	v_mul_f32_e32 v190, 0x3f4c4adb, v141
	v_add_f32_e32 v184, v184, v0
	v_mul_f32_e32 v147, 0x3f65296c, v145
	v_add_f32_e32 v36, v181, v36
	v_fmamk_f32 v181, v104, 0xbf4c4adb, v183
	v_mul_f32_e32 v189, 0xbf7ba420, v73
	v_add_f32_e32 v184, v187, v184
	v_fmamk_f32 v187, v65, 0x3dbcf732, v188
	;; [unrolled: 3-line block ×4, first 2 shown]
	v_fmamk_f32 v193, v76, 0x3ee437d1, v147
	v_add_f32_e32 v36, v181, v36
	v_fmamk_f32 v181, v108, 0x3e3c28d5, v189
	v_mul_f32_e32 v195, 0xbe3c28d5, v142
	v_add_f32_e32 v184, v187, v184
	v_fmamk_f32 v187, v69, 0x3f6eb680, v192
	v_fmamk_f32 v194, v111, 0xbf2c7751, v191
	v_add_f32_e32 v181, v181, v36
	v_add_f32_e32 v36, v193, v39
	v_mul_f32_e32 v193, 0x3f2c7751, v144
	v_add_f32_e32 v184, v187, v184
	v_fmamk_f32 v187, v71, 0xbf7ba420, v195
	v_add_f32_e32 v39, v194, v181
	v_mul_f32_e32 v181, 0xbf7ba420, v61
	v_mul_f32_e32 v194, 0xbe8c1d8e, v79
	;; [unrolled: 1-line block ×3, first 2 shown]
	v_add_f32_e32 v184, v187, v184
	v_fmamk_f32 v187, v75, 0x3f3d2fb0, v193
	v_fmamk_f32 v196, v82, 0x3e3c28d5, v181
	;; [unrolled: 1-line block ×4, first 2 shown]
	v_mul_f32_e32 v200, 0xbf59a7d5, v66
	v_add_f32_e32 v184, v187, v184
	v_mul_f32_e32 v187, 0xbe3c28d5, v38
	v_add_f32_e32 v196, v196, v1
	v_mul_f32_e32 v202, 0x3eb8f4ab, v40
	v_add_f32_e32 v39, v198, v39
	v_mul_f32_e32 v198, 0x3f3d2fb0, v68
	v_fmamk_f32 v201, v60, 0xbf7ba420, v187
	v_add_f32_e32 v38, v199, v196
	v_fmamk_f32 v196, v103, 0x3f06c442, v200
	v_fmamk_f32 v203, v63, 0x3f6eb680, v202
	v_mul_f32_e32 v204, 0xbf06c442, v41
	v_add_f32_e32 v201, v201, v0
	v_mul_f32_e32 v199, 0xbf763a35, v145
	v_add_f32_e32 v38, v196, v38
	v_fmamk_f32 v40, v104, 0xbf2c7751, v198
	v_mul_f32_e32 v196, 0xbf1a4643, v70
	v_add_f32_e32 v41, v203, v201
	v_fmamk_f32 v201, v65, 0xbf59a7d5, v204
	;; [unrolled: 3-line block ×3, first 2 shown]
	v_mul_f32_e32 v205, 0x3ee437d1, v73
	v_fmamk_f32 v141, v76, 0xbe8c1d8e, v199
	v_add_f32_e32 v41, v201, v41
	v_fmamk_f32 v201, v67, 0x3f3d2fb0, v203
	v_mul_f32_e32 v143, 0xbf4c4adb, v143
	v_add_f32_e32 v40, v40, v38
	v_fmamk_f32 v206, v108, 0xbf65296c, v205
	v_add_f32_e32 v38, v141, v184
	v_fmac_f32_e32 v178, 0xbf06c442, v82
	v_add_f32_e32 v41, v201, v41
	v_fmamk_f32 v141, v69, 0xbf1a4643, v143
	v_mul_f32_e32 v184, 0x3f65296c, v142
	v_mul_f32_e32 v201, 0xbe8c1d8e, v77
	v_add_f32_e32 v40, v206, v40
	v_add_f32_e32 v142, v178, v1
	;; [unrolled: 1-line block ×3, first 2 shown]
	v_fmamk_f32 v141, v71, 0x3ee437d1, v184
	v_mul_f32_e32 v178, 0xbf763a35, v144
	v_fmamk_f32 v144, v111, 0x3f763a35, v201
	v_fmac_f32_e32 v179, 0x3f65296c, v98
	v_fmac_f32_e32 v182, 0xbf7ee86f, v103
	v_add_f32_e32 v41, v141, v41
	v_fmamk_f32 v141, v75, 0xbe8c1d8e, v178
	v_add_f32_e32 v40, v144, v40
	v_fma_f32 v144, 0xbf59a7d5, v60, -v180
	v_add_f32_e32 v142, v179, v142
	v_mul_f32_e32 v179, 0x3dbcf732, v79
	v_add_f32_e32 v141, v141, v41
	v_mul_f32_e32 v145, 0x3f7ee86f, v145
	v_add_f32_e32 v41, v144, v0
	v_fma_f32 v144, 0x3ee437d1, v63, -v185
	v_add_f32_e32 v142, v182, v142
	v_fmamk_f32 v180, v115, 0xbf7ee86f, v179
	v_fma_f32 v182, 0x3dbcf732, v65, -v188
	v_fmac_f32_e32 v151, 0xbf763a35, v82
	v_add_f32_e32 v144, v144, v41
	v_fma_f32 v152, 0xbe8c1d8e, v60, -v152
	v_add_f32_e32 v41, v180, v40
	v_fmamk_f32 v40, v76, 0x3dbcf732, v145
	v_fma_f32 v180, 0xbf1a4643, v67, -v190
	v_add_f32_e32 v144, v182, v144
	v_add_f32_e32 v151, v151, v1
	v_fmac_f32_e32 v150, 0x3f06c442, v98
	v_add_f32_e32 v40, v40, v141
	v_add_f32_e32 v152, v152, v0
	v_add_f32_e32 v141, v180, v144
	v_fma_f32 v144, 0x3f6eb680, v69, -v192
	v_fma_f32 v153, 0xbf59a7d5, v63, -v153
	v_add_f32_e32 v150, v150, v151
	v_fmac_f32_e32 v154, 0x3f2c7751, v103
	v_fmac_f32_e32 v156, 0xbf65296c, v104
	v_add_f32_e32 v141, v144, v141
	v_fma_f32 v144, 0xbf7ba420, v71, -v195
	v_add_f32_e32 v151, v153, v152
	v_fma_f32 v152, 0x3f3d2fb0, v65, -v155
	v_add_f32_e32 v150, v154, v150
	v_fmac_f32_e32 v158, 0xbe3c28d5, v105
	v_add_f32_e32 v141, v144, v141
	v_fma_f32 v144, 0x3f3d2fb0, v75, -v193
	v_fmac_f32_e32 v160, 0x3f7ee86f, v108
	v_add_f32_e32 v150, v156, v150
	v_fmac_f32_e32 v181, 0xbe3c28d5, v82
	v_fmac_f32_e32 v162, 0xbeb8f4ab, v111
	v_add_f32_e32 v141, v144, v141
	v_add_f32_e32 v144, v152, v151
	v_fma_f32 v151, 0x3ee437d1, v67, -v157
	v_fma_f32 v152, 0xbe8c1d8e, v76, -v199
	v_add_f32_e32 v150, v158, v150
	v_fmac_f32_e32 v197, 0x3eb8f4ab, v98
	v_fmac_f32_e32 v165, 0xbf4c4adb, v115
	v_add_f32_e32 v144, v151, v144
	v_fma_f32 v151, 0xbf7ba420, v69, -v159
	v_add_f32_e32 v141, v152, v141
	v_add_f32_e32 v150, v160, v150
	v_add_f32_e32 v152, v181, v1
	v_fmac_f32_e32 v200, 0xbf06c442, v103
	v_add_f32_e32 v144, v151, v144
	v_fma_f32 v151, 0x3dbcf732, v71, -v161
	v_add_f32_e32 v150, v162, v150
	v_add_f32_e32 v152, v197, v152
	v_fma_f32 v154, 0xbf7ba420, v60, -v187
	v_fmac_f32_e32 v163, 0xbf4c4adb, v82
	v_add_f32_e32 v144, v151, v144
	v_fma_f32 v151, 0x3f6eb680, v75, -v164
	v_fmac_f32_e32 v198, 0x3f2c7751, v104
	v_add_f32_e32 v82, v154, v0
	v_fmac_f32_e32 v196, 0xbf4c4adb, v105
	v_fmac_f32_e32 v167, 0xbeb8f4ab, v103
	v_add_f32_e32 v151, v151, v144
	v_add_f32_e32 v144, v165, v150
	;; [unrolled: 1-line block ×3, first 2 shown]
	v_fma_f32 v152, 0x3f6eb680, v63, -v202
	v_fmac_f32_e32 v183, 0x3f4c4adb, v104
	v_fmac_f32_e32 v186, 0xbeb8f4ab, v105
	v_fma_f32 v153, 0xbf1a4643, v76, -v170
	v_add_f32_e32 v150, v198, v150
	v_add_f32_e32 v82, v152, v82
	v_fma_f32 v152, 0xbf59a7d5, v65, -v204
	v_fmac_f32_e32 v169, 0xbf06c442, v104
	v_fma_f32 v104, 0xbf1a4643, v69, -v143
	v_add_f32_e32 v103, v196, v150
	v_fma_f32 v150, 0x3f3d2fb0, v67, -v203
	v_add_f32_e32 v82, v152, v82
	v_fmac_f32_e32 v172, 0x3f7ee86f, v105
	v_mul_f32_e32 v105, 0x3dbcf732, v61
	v_fmac_f32_e32 v189, 0xbe3c28d5, v108
	v_fmac_f32_e32 v205, 0x3f65296c, v108
	v_add_f32_e32 v82, v150, v82
	v_add_f32_e32 v143, v153, v151
	v_fmac_f32_e32 v174, 0xbf2c7751, v108
	v_fma_f32 v108, 0x3ee437d1, v71, -v184
	v_mul_f32_e32 v151, 0xbf7ba420, v64
	v_add_f32_e32 v82, v104, v82
	v_add_f32_e32 v105, v136, v105
	v_mul_f32_e32 v136, 0xbe8c1d8e, v66
	v_fmac_f32_e32 v191, 0x3f2c7751, v111
	v_fmac_f32_e32 v201, 0xbf763a35, v111
	v_add_f32_e32 v82, v108, v82
	v_add_f32_e32 v108, v137, v151
	;; [unrolled: 1-line block ×3, first 2 shown]
	v_fmac_f32_e32 v176, 0xbe3c28d5, v111
	v_fma_f32 v111, 0xbe8c1d8e, v75, -v178
	v_fmac_f32_e32 v194, 0xbf763a35, v115
	v_fmac_f32_e32 v179, 0x3f7ee86f, v115
	v_add_f32_e32 v105, v108, v105
	v_add_f32_e32 v108, v138, v136
	v_mul_f32_e32 v136, 0x3f6eb680, v68
	v_add_f32_e32 v82, v111, v82
	v_mul_f32_e32 v111, 0x3ee437d1, v70
	v_fmac_f32_e32 v146, 0x3f65296c, v115
	v_add_f32_e32 v105, v108, v105
	v_add_f32_e32 v108, v139, v136
	v_mul_f32_e32 v115, 0xbf59a7d5, v73
	v_fma_f32 v104, 0xbf1a4643, v60, -v168
	v_fma_f32 v150, 0xbe8c1d8e, v63, -v171
	;; [unrolled: 1-line block ×3, first 2 shown]
	v_add_f32_e32 v105, v108, v105
	v_add_f32_e32 v108, v140, v111
	v_mul_f32_e32 v111, 0x3dbcf732, v60
	v_add_f32_e32 v115, v135, v115
	v_add_f32_e32 v104, v104, v0
	;; [unrolled: 1-line block ×4, first 2 shown]
	v_mul_f32_e32 v108, 0xbf7ba420, v63
	v_sub_f32_e32 v111, v111, v129
	v_mul_f32_e32 v129, 0xbf1a4643, v77
	v_add_f32_e32 v104, v150, v104
	v_add_f32_e32 v105, v115, v105
	v_sub_f32_e32 v108, v108, v130
	v_add_f32_e32 v111, v111, v0
	v_mul_f32_e32 v130, 0xbe8c1d8e, v65
	v_add_f32_e32 v115, v133, v129
	v_mul_f32_e32 v129, 0x3f6eb680, v67
	v_add_f32_e32 v104, v137, v104
	v_add_f32_e32 v108, v108, v111
	v_sub_f32_e32 v111, v130, v131
	v_mul_f32_e32 v131, 0xbf1a4643, v64
	v_sub_f32_e32 v129, v129, v132
	v_mul_f32_e32 v130, 0x3f6eb680, v60
	v_fma_f32 v137, 0xbf59a7d5, v67, -v175
	v_add_f32_e32 v108, v111, v108
	v_mul_f32_e32 v111, 0x3ee437d1, v61
	v_add_f32_e32 v118, v118, v131
	v_mul_f32_e32 v131, 0x3f3d2fb0, v60
	v_mul_f32_e32 v60, 0x3ee437d1, v60
	v_add_f32_e32 v108, v129, v108
	v_add_f32_e32 v111, v117, v111
	v_mul_f32_e32 v117, 0x3ee437d1, v69
	v_mul_f32_e32 v129, 0x3f6eb680, v61
	v_sub_f32_e32 v60, v60, v109
	v_mul_f32_e32 v109, 0xbf7ba420, v67
	v_add_f32_e32 v111, v111, v1
	v_sub_f32_e32 v117, v117, v126
	v_mul_f32_e32 v126, 0xbf7ba420, v66
	v_add_f32_e32 v60, v60, v0
	v_mul_f32_e32 v61, 0x3f3d2fb0, v61
	v_add_f32_e32 v111, v118, v111
	;; [unrolled: 2-line block ×3, first 2 shown]
	v_add_f32_e32 v108, v117, v108
	v_mul_f32_e32 v117, 0xbe8c1d8e, v68
	v_mul_f32_e32 v126, 0x3f3d2fb0, v63
	v_sub_f32_e32 v118, v118, v127
	v_add_f32_e32 v111, v119, v111
	v_mul_f32_e32 v119, 0x3dbcf732, v63
	v_add_f32_e32 v117, v120, v117
	v_mul_f32_e32 v120, 0xbf1a4643, v75
	v_mul_f32_e32 v63, 0xbf1a4643, v63
	v_add_f32_e32 v108, v118, v108
	v_mul_f32_e32 v118, 0x3f3d2fb0, v70
	v_add_f32_e32 v111, v117, v111
	v_sub_f32_e32 v120, v120, v128
	v_mul_f32_e32 v128, 0x3ee437d1, v65
	v_sub_f32_e32 v63, v63, v110
	v_add_f32_e32 v118, v121, v118
	v_mul_f32_e32 v121, 0xbf1a4643, v65
	v_mul_f32_e32 v65, 0xbf7ba420, v65
	;; [unrolled: 1-line block ×3, first 2 shown]
	v_add_f32_e32 v60, v63, v60
	v_add_f32_e32 v111, v118, v111
	v_mul_f32_e32 v118, 0x3dbcf732, v67
	v_mul_f32_e32 v67, 0xbe8c1d8e, v67
	v_sub_f32_e32 v65, v65, v112
	v_mul_f32_e32 v64, 0x3dbcf732, v64
	v_add_f32_e32 v104, v137, v104
	v_mul_f32_e32 v117, 0x3ee437d1, v66
	v_add_f32_e32 v108, v120, v108
	v_add_f32_e32 v60, v65, v60
	v_sub_f32_e32 v65, v67, v113
	v_mul_f32_e32 v120, 0x3f6eb680, v73
	v_mul_f32_e32 v66, 0xbf1a4643, v66
	v_add_f32_e32 v64, v99, v64
	v_sub_f32_e32 v99, v131, v54
	v_add_f32_e32 v133, v65, v60
	v_add_f32_e32 v60, v96, v61
	;; [unrolled: 1-line block ×4, first 2 shown]
	v_mul_f32_e32 v122, 0x3dbcf732, v68
	v_mul_f32_e32 v68, 0xbf7ba420, v68
	v_add_f32_e32 v137, v60, v1
	v_mul_f32_e32 v110, 0x3dbcf732, v77
	v_add_f32_e32 v66, v93, v66
	v_add_f32_e32 v93, v99, v0
	v_sub_f32_e32 v80, v119, v80
	v_add_f32_e32 v64, v64, v137
	v_add_f32_e32 v3, v25, v3
	;; [unrolled: 1-line block ×4, first 2 shown]
	v_mul_f32_e32 v123, 0xbe8c1d8e, v70
	v_mul_f32_e32 v70, 0xbf59a7d5, v70
	v_add_f32_e32 v64, v66, v64
	v_add_f32_e32 v66, v94, v68
	;; [unrolled: 1-line block ×3, first 2 shown]
	v_sub_f32_e32 v80, v121, v83
	v_add_f32_e32 v3, v27, v3
	v_add_f32_e32 v2, v26, v2
	v_mul_f32_e32 v112, 0xbf59a7d5, v69
	v_add_f32_e32 v64, v66, v64
	v_add_f32_e32 v66, v95, v70
	;; [unrolled: 1-line block ×3, first 2 shown]
	v_sub_f32_e32 v70, v109, v90
	v_add_f32_e32 v3, v17, v3
	v_add_f32_e32 v16, v16, v2
	v_fma_f32 v136, 0x3dbcf732, v69, -v177
	v_add_f32_e32 v111, v120, v111
	v_mul_f32_e32 v120, 0xbe8c1d8e, v69
	v_mul_f32_e32 v69, 0x3f3d2fb0, v69
	;; [unrolled: 1-line block ×3, first 2 shown]
	v_add_f32_e32 v68, v70, v68
	v_sub_f32_e32 v70, v112, v91
	v_add_f32_e32 v3, v19, v3
	v_add_f32_e32 v16, v18, v16
	v_sub_f32_e32 v69, v69, v114
	v_mul_f32_e32 v114, 0x3ee437d1, v75
	v_add_f32_e32 v68, v70, v68
	v_sub_f32_e32 v24, v67, v72
	v_add_f32_e32 v3, v29, v3
	v_add_f32_e32 v16, v28, v16
	v_sub_f32_e32 v26, v114, v74
	v_sub_f32_e32 v19, v130, v42
	v_add_f32_e32 v24, v24, v68
	v_add_f32_e32 v3, v31, v3
	;; [unrolled: 1-line block ×3, first 2 shown]
	v_fmac_f32_e32 v166, 0x3f763a35, v98
	v_add_f32_e32 v98, v163, v1
	v_add_f32_e32 v17, v26, v24
	;; [unrolled: 1-line block ×6, first 2 shown]
	v_sub_f32_e32 v19, v126, v44
	v_add_f32_e32 v1, v24, v1
	v_add_f32_e32 v24, v45, v127
	;; [unrolled: 1-line block ×5, first 2 shown]
	v_sub_f32_e32 v19, v128, v46
	v_add_f32_e32 v1, v24, v1
	v_add_f32_e32 v24, v47, v117
	;; [unrolled: 1-line block ×5, first 2 shown]
	v_mul_f32_e32 v63, 0x3f3d2fb0, v76
	v_add_f32_e32 v1, v24, v1
	v_add_f32_e32 v20, v49, v122
	v_add_f32_e32 v0, v19, v0
	v_sub_f32_e32 v19, v118, v48
	v_add_f32_e32 v3, v15, v3
	v_add_f32_e32 v12, v14, v12
	;; [unrolled: 1-line block ×4, first 2 shown]
	v_mul_f32_e32 v115, 0x3f3d2fb0, v79
	v_sub_f32_e32 v125, v63, v125
	v_mul_f32_e32 v132, 0xbf1a4643, v71
	v_add_f32_e32 v110, v110, v111
	v_mul_f32_e32 v111, 0xbf1a4643, v73
	v_mul_f32_e32 v63, 0xbf59a7d5, v79
	v_add_f32_e32 v1, v20, v1
	v_add_f32_e32 v13, v51, v123
	;; [unrolled: 1-line block ×3, first 2 shown]
	v_sub_f32_e32 v16, v120, v50
	v_add_f32_e32 v3, v9, v3
	v_add_f32_e32 v8, v8, v12
	;; [unrolled: 1-line block ×3, first 2 shown]
	v_fma_f32 v136, 0x3f3d2fb0, v71, -v148
	v_mul_f32_e32 v73, 0xbe8c1d8e, v73
	v_mul_f32_e32 v71, 0x3f6eb680, v71
	v_add_f32_e32 v142, v183, v142
	v_add_f32_e32 v98, v169, v98
	v_add_f32_e32 v115, v134, v115
	v_add_f32_e32 v113, v124, v63
	v_mul_f32_e32 v124, 0xbf59a7d5, v75
	v_mul_f32_e32 v134, 0xbf59a7d5, v77
	v_add_f32_e32 v1, v13, v1
	v_add_f32_e32 v13, v53, v111
	;; [unrolled: 1-line block ×3, first 2 shown]
	v_sub_f32_e32 v9, v132, v52
	v_add_f32_e32 v3, v11, v3
	v_add_f32_e32 v8, v10, v8
	;; [unrolled: 1-line block ×3, first 2 shown]
	v_fma_f32 v135, 0xbf7ba420, v75, -v149
	v_mul_f32_e32 v77, 0x3ee437d1, v77
	v_mul_f32_e32 v75, 0x3dbcf732, v75
	v_add_f32_e32 v69, v69, v133
	v_sub_f32_e32 v71, v71, v106
	v_add_f32_e32 v64, v66, v64
	v_add_f32_e32 v66, v97, v73
	;; [unrolled: 1-line block ×4, first 2 shown]
	v_mul_f32_e32 v61, 0xbf7ba420, v76
	v_mul_f32_e32 v96, 0xbf7ba420, v79
	v_add_f32_e32 v1, v13, v1
	v_add_f32_e32 v12, v58, v134
	;; [unrolled: 1-line block ×3, first 2 shown]
	v_sub_f32_e32 v9, v124, v55
	v_add_f32_e32 v3, v5, v3
	v_add_f32_e32 v4, v4, v8
	;; [unrolled: 1-line block ×3, first 2 shown]
	v_mul_f32_e32 v131, 0x3f6eb680, v76
	v_mul_f32_e32 v79, 0x3f6eb680, v79
	v_fma_f32 v135, 0x3dbcf732, v76, -v145
	v_fma_f32 v136, 0x3ee437d1, v76, -v147
	v_mul_f32_e32 v76, 0xbf59a7d5, v76
	v_add_f32_e32 v69, v71, v69
	v_sub_f32_e32 v71, v75, v107
	v_add_f32_e32 v64, v66, v64
	v_add_f32_e32 v66, v78, v77
	;; [unrolled: 1-line block ×8, first 2 shown]
	v_sub_f32_e32 v8, v61, v59
	v_add_f32_e32 v7, v7, v3
	v_add_f32_e32 v9, v6, v4
	v_mul_lo_u16 v10, v102, 17
	v_mov_b32_e32 v11, 3
	v_add_f32_e32 v69, v71, v69
	v_sub_f32_e32 v71, v76, v116
	v_add_f32_e32 v25, v66, v64
	v_add_f32_e32 v66, v100, v79
	v_sub_f32_e32 v18, v131, v81
	v_add_f32_e32 v142, v191, v142
	v_add_f32_e32 v98, v176, v98
	;; [unrolled: 1-line block ×7, first 2 shown]
	v_lshlrev_b32_sdwa v0, v11, v10 dst_sel:DWORD dst_unused:UNUSED_PAD src0_sel:DWORD src1_sel:WORD_0
	v_add_f32_e32 v65, v113, v110
	v_add_f32_e32 v64, v71, v69
	;; [unrolled: 1-line block ×11, first 2 shown]
	ds_write2_b64 v0, v[5:6], v[3:4] offset1:1
	ds_write2_b64 v0, v[1:2], v[64:65] offset0:2 offset1:3
	ds_write2_b64 v0, v[62:63], v[143:144] offset0:4 offset1:5
	;; [unrolled: 1-line block ×7, first 2 shown]
	ds_write_b64 v0, v[56:57] offset:128
.LBB0_7:
	s_or_b32 exec_lo, exec_lo, s4
	v_and_b32_e32 v0, 0xff, v102
	s_load_dwordx4 s[4:7], s[0:1], 0x0
	s_waitcnt lgkmcnt(0)
	s_barrier
	buffer_gl0_inv
	v_mul_lo_u16 v0, 0xf1, v0
	v_add_nc_u32_e32 v4, 0x800, v101
	v_add_nc_u32_e32 v7, 0x1000, v101
	v_cmp_gt_u16_e64 s0, 0x44, v102
	v_lshrrev_b16 v6, 12, v0
	v_mul_lo_u16 v0, v6, 17
	v_sub_nc_u16 v0, v102, v0
	v_and_b32_e32 v5, 0xff, v0
	v_mul_u32_u24_e32 v0, 12, v5
	v_lshlrev_b32_e32 v0, 3, v0
	s_clause 0x5
	global_load_dwordx4 v[36:39], v0, s[2:3]
	global_load_dwordx4 v[32:35], v0, s[2:3] offset:16
	global_load_dwordx4 v[24:27], v0, s[2:3] offset:32
	;; [unrolled: 1-line block ×5, first 2 shown]
	ds_read2_b64 v[45:48], v4 offset0:50 offset1:203
	v_add_nc_u32_e32 v4, 0x1c00, v101
	ds_read2_b64 v[0:3], v101 offset1:153
	ds_read2_b64 v[49:52], v7 offset0:100 offset1:253
	v_add_nc_u32_e32 v7, 0x2400, v101
	ds_read2_b64 v[58:61], v4 offset0:22 offset1:175
	v_add_nc_u32_e32 v4, 0x2e00, v101
	ds_read2_b64 v[62:65], v7 offset0:72 offset1:225
	ds_read2_b64 v[66:69], v4 offset0:58 offset1:211
	ds_read_b64 v[53:54], v101 offset:14688
	s_waitcnt vmcnt(0) lgkmcnt(0)
	s_barrier
	buffer_gl0_inv
	v_mul_f32_e32 v12, v3, v37
	v_mul_f32_e32 v55, v2, v37
	;; [unrolled: 1-line block ×8, first 2 shown]
	v_fma_f32 v79, v2, v36, -v12
	v_fmac_f32_e32 v55, v3, v36
	v_mul_f32_e32 v15, v48, v33
	v_mul_f32_e32 v44, v49, v35
	;; [unrolled: 1-line block ×12, first 2 shown]
	v_fma_f32 v80, v45, v38, -v13
	v_fmac_f32_e32 v70, v46, v38
	v_fmac_f32_e32 v71, v48, v32
	v_fma_f32 v46, v49, v34, -v41
	v_fma_f32 v2, v53, v22, -v78
	v_fmac_f32_e32 v10, v54, v22
	v_add_f32_e32 v48, v0, v79
	v_add_f32_e32 v49, v1, v55
	v_mul_f32_e32 v72, v59, v27
	v_mul_f32_e32 v40, v58, v27
	;; [unrolled: 1-line block ×3, first 2 shown]
	v_fma_f32 v47, v47, v32, -v15
	v_fmac_f32_e32 v44, v50, v34
	v_fma_f32 v45, v51, v24, -v43
	v_fmac_f32_e32 v42, v52, v24
	;; [unrolled: 2-line block ×6, first 2 shown]
	v_sub_f32_e32 v52, v79, v2
	v_sub_f32_e32 v53, v55, v10
	v_add_f32_e32 v48, v48, v80
	v_add_f32_e32 v49, v49, v70
	v_mul_f32_e32 v14, v60, v17
	v_fma_f32 v43, v58, v26, -v72
	v_fmac_f32_e32 v40, v59, v26
	v_fma_f32 v41, v60, v16, -v73
	v_add_f32_e32 v50, v79, v2
	v_add_f32_e32 v51, v55, v10
	;; [unrolled: 1-line block ×4, first 2 shown]
	v_sub_f32_e32 v58, v80, v3
	v_sub_f32_e32 v59, v70, v9
	v_add_f32_e32 v60, v47, v12
	v_sub_f32_e32 v62, v47, v12
	v_sub_f32_e32 v63, v71, v8
	;; [unrolled: 1-line block ×6, first 2 shown]
	v_mul_f32_e32 v70, 0xbeedf032, v53
	v_mul_f32_e32 v78, 0xbeedf032, v52
	;; [unrolled: 1-line block ×12, first 2 shown]
	v_add_f32_e32 v47, v48, v47
	v_add_f32_e32 v48, v49, v71
	v_fmac_f32_e32 v14, v61, v16
	v_add_f32_e32 v61, v71, v8
	v_add_f32_e32 v64, v46, v13
	;; [unrolled: 1-line block ×5, first 2 shown]
	v_mul_f32_e32 v94, 0xbf52af12, v59
	v_mul_f32_e32 v95, 0xbf52af12, v58
	;; [unrolled: 1-line block ×48, first 2 shown]
	v_fma_f32 v49, 0x3f62ad3f, v50, -v70
	v_fmamk_f32 v71, v51, 0x3f62ad3f, v78
	v_fmac_f32_e32 v70, 0x3f62ad3f, v50
	v_fma_f32 v78, 0x3f62ad3f, v51, -v78
	v_fma_f32 v137, 0x3f116cb1, v50, -v79
	v_fmamk_f32 v138, v51, 0x3f116cb1, v80
	v_fmac_f32_e32 v79, 0x3f116cb1, v50
	v_fma_f32 v80, 0x3f116cb1, v51, -v80
	;; [unrolled: 4-line block ×6, first 2 shown]
	v_add_f32_e32 v46, v47, v46
	v_add_f32_e32 v44, v48, v44
	v_fma_f32 v51, 0x3f116cb1, v54, -v94
	v_fmamk_f32 v52, v55, 0x3f116cb1, v95
	v_fmac_f32_e32 v94, 0x3f116cb1, v54
	v_fma_f32 v95, 0x3f116cb1, v55, -v95
	v_fma_f32 v147, 0xbeb58ec6, v54, -v96
	v_fmamk_f32 v148, v55, 0xbeb58ec6, v97
	v_fmac_f32_e32 v96, 0xbeb58ec6, v54
	v_fma_f32 v97, 0xbeb58ec6, v55, -v97
	;; [unrolled: 4-line block ×18, first 2 shown]
	v_fma_f32 v65, 0xbf3f9e67, v68, -v126
	v_fmac_f32_e32 v126, 0xbf3f9e67, v68
	v_fma_f32 v177, 0x3df6dbef, v68, -v128
	v_fmac_f32_e32 v128, 0x3df6dbef, v68
	;; [unrolled: 2-line block ×5, first 2 shown]
	v_fma_f32 v185, 0xbeb58ec6, v68, -v73
	v_fmamk_f32 v186, v69, 0xbeb58ec6, v72
	v_fmac_f32_e32 v73, 0xbeb58ec6, v68
	v_fma_f32 v68, 0xbeb58ec6, v69, -v72
	v_add_f32_e32 v47, v0, v49
	v_add_f32_e32 v48, v1, v71
	;; [unrolled: 1-line block ×28, first 2 shown]
	v_sub_f32_e32 v76, v43, v41
	v_sub_f32_e32 v77, v40, v14
	v_add_f32_e32 v0, v59, v0
	v_add_f32_e32 v1, v54, v1
	;; [unrolled: 1-line block ×19, first 2 shown]
	v_mul_f32_e32 v136, 0xbe750f2a, v77
	v_add_f32_e32 v48, v95, v70
	v_add_f32_e32 v44, v58, v46
	v_add_f32_e32 v45, v106, v47
	v_add_f32_e32 v47, v157, v49
	v_add_f32_e32 v40, v61, v42
	v_add_f32_e32 v0, v0, v12
	v_add_f32_e32 v1, v1, v8
	v_fmamk_f32 v66, v69, 0xbf3f9e67, v127
	v_fma_f32 v127, 0xbf3f9e67, v69, -v127
	v_fmamk_f32 v178, v69, 0x3df6dbef, v129
	v_fma_f32 v129, 0x3df6dbef, v69, -v129
	;; [unrolled: 2-line block ×5, first 2 shown]
	v_fma_f32 v69, 0xbf788fa5, v74, -v136
	v_add_f32_e32 v50, v148, v72
	v_add_f32_e32 v51, v96, v78
	;; [unrolled: 1-line block ×22, first 2 shown]
	v_mul_f32_e32 v3, 0xbe750f2a, v76
	v_mul_f32_e32 v9, 0x3eedf032, v77
	v_add_f32_e32 v82, v153, v140
	v_add_f32_e32 v48, v158, v50
	;; [unrolled: 1-line block ×20, first 2 shown]
	v_fmamk_f32 v7, v75, 0xbf788fa5, v3
	v_fma_f32 v11, 0x3f62ad3f, v74, -v9
	v_add_f32_e32 v83, v154, v141
	v_add_f32_e32 v71, v163, v82
	;; [unrolled: 1-line block ×19, first 2 shown]
	v_fmac_f32_e32 v136, 0xbf788fa5, v74
	v_fma_f32 v8, 0xbf788fa5, v75, -v3
	v_mul_f32_e32 v10, 0x3eedf032, v76
	v_add_f32_e32 v3, v7, v14
	v_add_f32_e32 v7, v11, v41
	v_mul_f32_e32 v11, 0xbf29c268, v77
	v_add_f32_e32 v72, v164, v83
	v_add_f32_e32 v59, v173, v71
	;; [unrolled: 1-line block ×12, first 2 shown]
	v_fmamk_f32 v8, v75, 0x3f62ad3f, v10
	v_fmac_f32_e32 v9, 0x3f62ad3f, v74
	v_fma_f32 v14, 0xbf3f9e67, v74, -v11
	v_mul_f32_e32 v15, 0x3f52af12, v77
	v_add_f32_e32 v60, v174, v72
	v_add_f32_e32 v47, v130, v51
	;; [unrolled: 1-line block ×7, first 2 shown]
	v_fmac_f32_e32 v11, 0xbf3f9e67, v74
	v_fma_f32 v14, 0x3f116cb1, v74, -v15
	v_mul_f32_e32 v40, 0x3f52af12, v76
	v_mul_f32_e32 v42, 0xbf6f5d39, v76
	v_add_f32_e32 v78, v114, v90
	v_add_f32_e32 v44, v129, v48
	v_fma_f32 v10, 0x3f62ad3f, v75, -v10
	v_mul_f32_e32 v12, 0xbf29c268, v76
	v_add_f32_e32 v51, v133, v58
	v_add_f32_e32 v53, v184, v60
	;; [unrolled: 1-line block ×4, first 2 shown]
	v_fma_f32 v14, 0x3f116cb1, v75, -v40
	v_fmamk_f32 v43, v75, 0xbeb58ec6, v42
	v_add_f32_e32 v61, v124, v78
	v_add_f32_e32 v48, v131, v52
	;; [unrolled: 1-line block ×3, first 2 shown]
	v_fmamk_f32 v10, v75, 0xbf3f9e67, v12
	v_fma_f32 v12, 0xbf3f9e67, v75, -v12
	v_mul_f32_e32 v41, 0xbf6f5d39, v77
	v_fmac_f32_e32 v15, 0x3f116cb1, v74
	v_add_f32_e32 v52, v183, v59
	v_add_f32_e32 v59, v14, v51
	;; [unrolled: 1-line block ×3, first 2 shown]
	v_mov_b32_e32 v43, 0xdd
	v_add_f32_e32 v13, v182, v54
	v_add_f32_e32 v54, v134, v61
	;; [unrolled: 1-line block ×3, first 2 shown]
	v_fmamk_f32 v12, v75, 0x3f116cb1, v40
	v_fma_f32 v40, 0xbeb58ec6, v74, -v41
	v_add_f32_e32 v58, v15, v50
	v_fmac_f32_e32 v41, 0xbeb58ec6, v74
	v_fma_f32 v15, 0xbeb58ec6, v75, -v42
	v_mul_f32_e32 v44, 0x3f7e222b, v77
	v_mul_f32_e32 v42, 0x3f7e222b, v76
	v_mul_u32_u24_sdwa v6, v6, v43 dst_sel:DWORD dst_unused:UNUSED_PAD src0_sel:WORD_0 src1_sel:DWORD
	v_add_f32_e32 v65, v73, v67
	v_add_f32_e32 v10, v10, v46
	;; [unrolled: 1-line block ×6, first 2 shown]
	v_fma_f32 v15, 0x3df6dbef, v74, -v44
	v_fmamk_f32 v45, v75, 0x3df6dbef, v42
	v_fmac_f32_e32 v44, 0x3df6dbef, v74
	v_fma_f32 v46, 0x3df6dbef, v75, -v42
	v_add_lshl_u32 v103, v6, v5, 3
	v_add_nc_u32_e32 v97, 0xd00, v101
	v_add_nc_u32_e32 v96, 0x1b00, v101
	v_add_f32_e32 v42, v15, v62
	v_add_f32_e32 v43, v45, v63
	;; [unrolled: 1-line block ×4, first 2 shown]
	v_add_nc_u32_e32 v95, 0x2900, v101
	ds_write2_b64 v103, v[0:1], v[2:3] offset1:17
	ds_write2_b64 v103, v[7:8], v[9:10] offset0:34 offset1:51
	ds_write2_b64 v103, v[11:12], v[13:14] offset0:68 offset1:85
	ds_write2_b64 v103, v[42:43], v[44:45] offset0:102 offset1:119
	ds_write2_b64 v103, v[40:41], v[58:59] offset0:136 offset1:153
	ds_write2_b64 v103, v[60:61], v[68:69] offset0:170 offset1:187
	ds_write_b64 v103, v[70:71] offset:1632
	s_waitcnt lgkmcnt(0)
	s_barrier
	buffer_gl0_inv
	ds_read2_b64 v[62:65], v101 offset1:221
	ds_read2_b64 v[80:83], v97 offset0:26 offset1:247
	ds_read2_b64 v[76:79], v96 offset0:20 offset1:241
	;; [unrolled: 1-line block ×3, first 2 shown]
	ds_read_b64 v[66:67], v101 offset:14144
                                        ; implicit-def: $vgpr90
	s_and_saveexec_b32 s1, s0
	s_cbranch_execz .LBB0_9
; %bb.8:
	v_add_nc_u32_e32 v0, 0x2000, v101
	v_add_nc_u32_e32 v5, 0x1200, v101
	ds_read2_b64 v[54:57], v4 offset0:7 offset1:228
	ds_read2_b64 v[0:3], v0 offset0:13 offset1:234
	v_add_nc_u32_e32 v4, 0x400, v101
	ds_read_b64 v[90:91], v101 offset:15368
	ds_read2_b64 v[58:61], v4 offset0:25 offset1:246
	ds_read2_b64 v[68:71], v5 offset0:19 offset1:240
	s_waitcnt lgkmcnt(4)
	v_mov_b32_e32 v84, v54
	v_mov_b32_e32 v85, v55
	s_waitcnt lgkmcnt(3)
	v_mov_b32_e32 v86, v2
	v_mov_b32_e32 v87, v3
	;; [unrolled: 1-line block ×4, first 2 shown]
.LBB0_9:
	s_or_b32 exec_lo, exec_lo, s1
	v_lshlrev_b32_e32 v0, 6, v102
	s_clause 0x3
	global_load_dwordx4 v[52:55], v0, s[2:3] offset:1632
	global_load_dwordx4 v[48:51], v0, s[2:3] offset:1648
	;; [unrolled: 1-line block ×4, first 2 shown]
	v_add_co_u32 v0, s1, 0x99, v102
	v_add_co_ci_u32_e64 v1, null, 0, 0, s1
	v_add_co_u32 v2, s1, 0xffffffbc, v102
	v_add_co_ci_u32_e64 v3, null, 0, -1, s1
	v_cndmask_b32_e64 v0, v2, v0, s0
	v_cndmask_b32_e64 v1, v3, v1, s0
	v_lshlrev_b64 v[0:1], 6, v[0:1]
	v_add_co_u32 v4, s1, s2, v0
	v_add_co_ci_u32_e64 v5, s1, s3, v1, s1
	s_clause 0x3
	global_load_dwordx4 v[0:3], v[4:5], off offset:1632
	global_load_dwordx4 v[8:11], v[4:5], off offset:1648
	;; [unrolled: 1-line block ×4, first 2 shown]
	s_waitcnt vmcnt(7) lgkmcnt(4)
	v_mul_f32_e32 v93, v65, v53
	v_mul_f32_e32 v94, v64, v53
	s_waitcnt lgkmcnt(3)
	v_mul_f32_e32 v98, v81, v55
	v_mul_f32_e32 v99, v80, v55
	s_waitcnt vmcnt(6) lgkmcnt(2)
	v_mul_f32_e32 v105, v77, v51
	v_mul_f32_e32 v106, v76, v51
	s_waitcnt vmcnt(5)
	v_mul_f32_e32 v107, v79, v45
	v_mul_f32_e32 v108, v78, v45
	s_waitcnt vmcnt(4) lgkmcnt(1)
	v_mul_f32_e32 v111, v75, v41
	v_mul_f32_e32 v112, v74, v41
	s_waitcnt lgkmcnt(0)
	v_mul_f32_e32 v113, v67, v43
	v_mul_f32_e32 v114, v66, v43
	;; [unrolled: 1-line block ×6, first 2 shown]
	v_fma_f32 v64, v64, v52, -v93
	v_fmac_f32_e32 v94, v65, v52
	v_fma_f32 v65, v80, v54, -v98
	v_fmac_f32_e32 v99, v81, v54
	;; [unrolled: 2-line block ×8, first 2 shown]
	v_add_f32_e32 v73, v64, v66
	v_add_f32_e32 v74, v94, v114
	;; [unrolled: 1-line block ×4, first 2 shown]
	v_sub_f32_e32 v82, v94, v114
	v_sub_f32_e32 v94, v106, v108
	v_add_f32_e32 v98, v76, v77
	v_add_f32_e32 v79, v80, v72
	;; [unrolled: 1-line block ×3, first 2 shown]
	v_sub_f32_e32 v83, v99, v112
	v_sub_f32_e32 v72, v80, v72
	;; [unrolled: 1-line block ×4, first 2 shown]
	v_add_f32_e32 v99, v106, v108
	v_mul_f32_e32 v104, 0x3f248dbb, v82
	v_fmamk_f32 v105, v73, 0x3f441b7d, v62
	v_mul_f32_e32 v110, 0xbf248dbb, v94
	v_fmamk_f32 v111, v98, 0x3f441b7d, v62
	v_add_f32_e32 v115, v75, v73
	v_add_f32_e32 v116, v78, v74
	v_mul_f32_e32 v118, 0x3f7c1c5c, v94
	v_fmamk_f32 v119, v75, 0x3f441b7d, v62
	s_waitcnt vmcnt(3)
	v_mul_f32_e32 v121, v61, v1
	v_mul_f32_e32 v122, v60, v1
	;; [unrolled: 1-line block ×4, first 2 shown]
	s_waitcnt vmcnt(2)
	v_mul_f32_e32 v127, v89, v11
	s_waitcnt vmcnt(1)
	v_mul_f32_e32 v129, v87, v13
	;; [unrolled: 2-line block ×3, first 2 shown]
	v_mul_f32_e32 v134, v56, v5
	v_mul_f32_e32 v135, v91, v7
	;; [unrolled: 1-line block ×3, first 2 shown]
	v_sub_f32_e32 v64, v64, v66
	v_sub_f32_e32 v65, v65, v67
	v_add_f32_e32 v114, v94, v82
	v_add_f32_e32 v66, v79, v62
	v_mul_f32_e32 v117, 0x3f7c1c5c, v93
	v_mul_f32_e32 v125, v71, v9
	;; [unrolled: 1-line block ×7, first 2 shown]
	v_fmac_f32_e32 v104, 0x3f7c1c5c, v83
	v_fmac_f32_e32 v105, 0x3e31d0d4, v75
	;; [unrolled: 1-line block ×4, first 2 shown]
	v_add_f32_e32 v137, v98, v115
	v_add_f32_e32 v138, v99, v116
	v_fma_f32 v118, 0xbf248dbb, v83, -v118
	v_add_f32_e32 v115, v79, v115
	v_add_f32_e32 v116, v81, v116
	v_fmac_f32_e32 v119, 0x3e31d0d4, v98
	v_fma_f32 v60, v60, v0, -v121
	v_fmac_f32_e32 v122, v61, v0
	v_fma_f32 v61, v68, v2, -v123
	;; [unrolled: 2-line block ×3, first 2 shown]
	v_fma_f32 v86, v86, v12, -v129
	v_fma_f32 v56, v56, v4, -v133
	v_fmac_f32_e32 v134, v57, v4
	v_fma_f32 v57, v90, v6, -v135
	v_fmac_f32_e32 v136, v91, v6
	v_sub_f32_e32 v114, v114, v83
	v_fma_f32 v117, 0xbf248dbb, v65, -v117
	v_fma_f32 v68, v70, v8, -v125
	v_fmac_f32_e32 v126, v71, v8
	v_fmac_f32_e32 v128, v89, v10
	v_fma_f32 v69, v84, v14, -v131
	v_fmac_f32_e32 v132, v85, v14
	v_fmac_f32_e32 v104, 0x3f5db3d7, v80
	v_fmac_f32_e32 v105, -0.5, v79
	v_fmac_f32_e32 v110, 0xbf5db3d7, v80
	v_fmac_f32_e32 v111, -0.5, v79
	v_fmac_f32_e32 v66, -0.5, v137
	v_fmac_f32_e32 v118, 0x3f5db3d7, v80
	v_add_f32_e32 v70, v76, v115
	v_add_f32_e32 v71, v106, v116
	v_fmac_f32_e32 v119, -0.5, v79
	v_add_f32_e32 v106, v60, v57
	v_add_f32_e32 v115, v122, v136
	;; [unrolled: 1-line block ×4, first 2 shown]
	v_sub_f32_e32 v57, v60, v57
	v_sub_f32_e32 v60, v122, v136
	;; [unrolled: 1-line block ×3, first 2 shown]
	v_mul_f32_e32 v109, 0xbf248dbb, v93
	v_fmamk_f32 v120, v78, 0x3f441b7d, v63
	v_mul_f32_e32 v85, 0x3f5db3d7, v114
	v_fmac_f32_e32 v117, 0x3f5db3d7, v72
	v_add_f32_e32 v91, v68, v69
	v_add_f32_e32 v116, v126, v132
	v_sub_f32_e32 v56, v61, v56
	v_fmac_f32_e32 v104, 0x3eaf1d44, v94
	v_fmac_f32_e32 v105, 0xbf708fb2, v98
	;; [unrolled: 1-line block ×7, first 2 shown]
	v_mul_f32_e32 v94, 0x3f248dbb, v57
	v_mul_f32_e32 v98, 0xbf248dbb, v122
	v_add_f32_e32 v82, v89, v106
	v_add_f32_e32 v83, v90, v115
	v_mul_f32_e32 v114, 0x3f7c1c5c, v122
	v_mul_f32_e32 v100, 0x3f248dbb, v64
	v_fmamk_f32 v107, v74, 0x3f441b7d, v63
	v_fmamk_f32 v112, v99, 0x3f441b7d, v63
	v_add_f32_e32 v113, v93, v64
	v_fmac_f32_e32 v109, 0x3f7c1c5c, v64
	v_fmac_f32_e32 v120, 0x3e31d0d4, v99
	;; [unrolled: 1-line block ×3, first 2 shown]
	v_sub_f32_e32 v87, v68, v69
	v_fmac_f32_e32 v117, 0x3eaf1d44, v64
	v_add_f32_e32 v64, v110, v111
	v_add_f32_e32 v76, v118, v119
	v_fmac_f32_e32 v94, 0x3f7c1c5c, v56
	v_fmac_f32_e32 v98, 0x3f7c1c5c, v57
	v_fma_f32 v111, 0xbf248dbb, v56, -v114
	v_add_f32_e32 v114, v91, v82
	v_add_f32_e32 v119, v116, v83
	;; [unrolled: 1-line block ×3, first 2 shown]
	v_fmac_f32_e32 v100, 0x3f7c1c5c, v65
	v_fmac_f32_e32 v107, 0x3e31d0d4, v78
	;; [unrolled: 1-line block ×3, first 2 shown]
	v_fmac_f32_e32 v120, -0.5, v81
	v_sub_f32_e32 v61, v124, v134
	v_add_f32_e32 v124, v88, v86
	v_fmac_f32_e32 v94, 0x3f5db3d7, v87
	v_fmac_f32_e32 v98, 0xbf5db3d7, v87
	;; [unrolled: 1-line block ×3, first 2 shown]
	v_add_f32_e32 v87, v88, v114
	v_add_f32_e32 v88, v128, v119
	v_sub_f32_e32 v113, v113, v65
	v_fmac_f32_e32 v100, 0x3f5db3d7, v72
	v_fmac_f32_e32 v107, -0.5, v81
	v_fmac_f32_e32 v109, 0xbf5db3d7, v72
	v_fmac_f32_e32 v112, -0.5, v81
	v_fmac_f32_e32 v67, -0.5, v138
	v_sub_f32_e32 v123, v128, v130
	v_add_f32_e32 v125, v128, v130
	v_fmac_f32_e32 v120, 0xbf708fb2, v74
	v_mul_f32_e32 v74, 0x3f248dbb, v60
	v_fmamk_f32 v75, v106, 0x3f441b7d, v58
	v_add_f32_e32 v86, v86, v87
	v_add_f32_e32 v87, v130, v88
	v_mul_f32_e32 v84, 0x3f5db3d7, v113
	v_sub_f32_e32 v121, v126, v132
	v_fmac_f32_e32 v100, 0x3eaf1d44, v93
	v_fmac_f32_e32 v107, 0xbf708fb2, v99
	;; [unrolled: 1-line block ×5, first 2 shown]
	v_add_f32_e32 v69, v108, v71
	v_fmamk_f32 v93, v115, 0x3f441b7d, v59
	v_mul_f32_e32 v99, 0xbf248dbb, v123
	v_fmamk_f32 v108, v124, 0x3f441b7d, v58
	v_fmamk_f32 v113, v125, 0x3f441b7d, v59
	v_add_f32_e32 v72, v58, v91
	v_add_f32_e32 v73, v59, v116
	v_mul_f32_e32 v126, 0x3f7c1c5c, v123
	v_fmac_f32_e32 v74, 0x3f7c1c5c, v61
	v_fmac_f32_e32 v75, 0x3e31d0d4, v89
	v_add_f32_e32 v86, v58, v86
	v_add_f32_e32 v87, v59, v87
	v_fmac_f32_e32 v58, 0x3f441b7d, v89
	v_fmac_f32_e32 v59, 0x3f441b7d, v90
	v_sub_f32_e32 v65, v112, v109
	v_fmac_f32_e32 v93, 0x3e31d0d4, v90
	v_fmac_f32_e32 v99, 0x3f7c1c5c, v60
	;; [unrolled: 1-line block ×4, first 2 shown]
	v_fma_f32 v112, 0xbf248dbb, v61, -v126
	v_fmac_f32_e32 v74, 0x3f5db3d7, v121
	v_fmac_f32_e32 v75, -0.5, v91
	v_fmac_f32_e32 v58, 0x3e31d0d4, v124
	v_fmac_f32_e32 v59, 0x3e31d0d4, v125
	v_add_f32_e32 v68, v77, v70
	v_add_f32_e32 v78, v122, v57
	;; [unrolled: 1-line block ×4, first 2 shown]
	v_sub_f32_e32 v71, v107, v100
	v_add_f32_e32 v105, v124, v82
	v_add_f32_e32 v107, v125, v83
	v_fmac_f32_e32 v93, -0.5, v116
	v_fmac_f32_e32 v99, 0xbf5db3d7, v121
	v_fmac_f32_e32 v108, -0.5, v91
	v_fmac_f32_e32 v113, -0.5, v116
	v_fmac_f32_e32 v112, 0x3f5db3d7, v121
	v_fmac_f32_e32 v74, 0x3eaf1d44, v123
	v_fmac_f32_e32 v75, 0xbf708fb2, v124
	v_fmac_f32_e32 v58, -0.5, v91
	v_fmac_f32_e32 v59, -0.5, v116
	v_add_f32_e32 v68, v68, v62
	v_add_f32_e32 v69, v69, v63
	v_sub_f32_e32 v62, v78, v56
	v_sub_f32_e32 v63, v79, v61
	v_fmac_f32_e32 v72, -0.5, v105
	v_fmac_f32_e32 v73, -0.5, v107
	v_fmac_f32_e32 v94, 0x3eaf1d44, v122
	v_fmac_f32_e32 v93, 0xbf708fb2, v125
	;; [unrolled: 1-line block ×8, first 2 shown]
	v_add_f32_e32 v88, v74, v75
	v_fmac_f32_e32 v58, 0xbf708fb2, v106
	v_fmac_f32_e32 v59, 0xbf708fb2, v115
	v_fma_f32 v80, -2.0, v85, v66
	v_fma_f32 v81, 2.0, v84, v67
	v_sub_f32_e32 v77, v120, v117
	v_fma_f32 v84, -2.0, v104, v70
	v_fma_f32 v85, 2.0, v100, v71
	v_mul_f32_e32 v100, 0x3f5db3d7, v62
	v_mul_f32_e32 v104, 0x3f5db3d7, v63
	v_fmac_f32_e32 v72, 0x3f5db3d7, v63
	v_fmac_f32_e32 v73, 0xbf5db3d7, v62
	v_sub_f32_e32 v89, v93, v94
	v_add_f32_e32 v90, v99, v108
	v_sub_f32_e32 v91, v113, v98
	v_fma_f32 v93, -2.0, v74, v88
	v_add_f32_e32 v74, v112, v58
	v_sub_f32_e32 v75, v59, v111
	v_fma_f32 v82, -2.0, v110, v64
	v_fma_f32 v83, 2.0, v109, v65
	v_fma_f32 v78, -2.0, v118, v76
	v_fma_f32 v79, 2.0, v117, v77
	;; [unrolled: 2-line block ×3, first 2 shown]
	v_fma_f32 v94, 2.0, v94, v89
	v_fma_f32 v99, -2.0, v99, v90
	v_fma_f32 v100, 2.0, v98, v91
	v_fma_f32 v60, -2.0, v112, v74
	v_fma_f32 v61, 2.0, v111, v75
	ds_write2_b64 v101, v[68:69], v[70:71] offset1:221
	ds_write2_b64 v97, v[64:65], v[66:67] offset0:26 offset1:247
	ds_write2_b64 v96, v[76:77], v[78:79] offset0:20 offset1:241
	;; [unrolled: 1-line block ×3, first 2 shown]
	ds_write_b64 v101, v[84:85] offset:14144
	s_and_saveexec_b32 s1, s0
	s_cbranch_execz .LBB0_11
; %bb.10:
	v_add_nc_u32_e32 v56, 0x400, v101
	v_add_nc_u32_e32 v57, 0x1200, v101
	;; [unrolled: 1-line block ×4, first 2 shown]
	ds_write2_b64 v56, v[86:87], v[88:89] offset0:25 offset1:246
	ds_write2_b64 v57, v[90:91], v[72:73] offset0:19 offset1:240
	ds_write2_b64 v58, v[74:75], v[60:61] offset0:13 offset1:234
	ds_write2_b64 v59, v[62:63], v[99:100] offset0:7 offset1:228
	ds_write_b64 v101, v[93:94] offset:15368
.LBB0_11:
	s_or_b32 exec_lo, exec_lo, s1
	s_waitcnt lgkmcnt(0)
	s_barrier
	buffer_gl0_inv
	s_and_saveexec_b32 s2, vcc_lo
	s_cbranch_execz .LBB0_13
; %bb.12:
	v_add_co_u32 v106, s1, s12, v101
	v_add_co_ci_u32_e64 v107, null, s13, 0, s1
	v_add_nc_u32_e32 v161, 0x800, v101
	v_add_co_u32 v56, s1, 0x3800, v106
	v_add_co_ci_u32_e64 v57, s1, 0, v107, s1
	v_add_co_u32 v58, s1, 0x3e28, v106
	v_add_co_ci_u32_e64 v59, s1, 0, v107, s1
	global_load_dwordx2 v[56:57], v[56:57], off offset:1576
	v_add_co_u32 v95, s1, 0x4800, v106
	v_add_co_ci_u32_e64 v96, s1, 0, v107, s1
	v_add_co_u32 v97, s1, 0x5000, v106
	v_add_co_ci_u32_e64 v98, s1, 0, v107, s1
	;; [unrolled: 2-line block ×3, first 2 shown]
	s_clause 0x2
	global_load_dwordx2 v[128:129], v[58:59], off offset:936
	global_load_dwordx2 v[130:131], v[95:96], off offset:288
	;; [unrolled: 1-line block ×3, first 2 shown]
	v_add_co_u32 v58, s1, 0x6000, v106
	v_add_co_ci_u32_e64 v59, s1, 0, v107, s1
	s_clause 0x1
	global_load_dwordx2 v[134:135], v[95:96], off offset:1224
	global_load_dwordx2 v[136:137], v[97:98], off offset:112
	v_add_co_u32 v95, s1, 0x6800, v106
	v_add_co_ci_u32_e64 v96, s1, 0, v107, s1
	s_clause 0x3
	global_load_dwordx2 v[138:139], v[97:98], off offset:1048
	global_load_dwordx2 v[140:141], v[97:98], off offset:1984
	global_load_dwordx2 v[142:143], v[104:105], off offset:872
	global_load_dwordx2 v[144:145], v[104:105], off offset:1808
	v_add_co_u32 v97, s1, 0x7000, v106
	v_add_co_ci_u32_e64 v98, s1, 0, v107, s1
	s_clause 0x3
	global_load_dwordx2 v[146:147], v[58:59], off offset:696
	global_load_dwordx2 v[148:149], v[58:59], off offset:1632
	;; [unrolled: 7-line block ×3, first 2 shown]
	global_load_dwordx2 v[158:159], v[58:59], off offset:168
	ds_read_b64 v[58:59], v101
	v_add_nc_u32_e32 v162, 0x1000, v101
	v_add_nc_u32_e32 v163, 0x1800, v101
	;; [unrolled: 1-line block ×6, first 2 shown]
	s_waitcnt vmcnt(16) lgkmcnt(0)
	v_mul_f32_e32 v95, v59, v57
	v_mul_f32_e32 v96, v58, v57
	v_fma_f32 v95, v58, v56, -v95
	v_fmac_f32_e32 v96, v59, v56
	ds_write_b64 v101, v[95:96]
	ds_read2_b64 v[56:59], v101 offset0:117 offset1:234
	ds_read2_b64 v[95:98], v161 offset0:95 offset1:212
	ds_read2_b64 v[104:107], v162 offset0:73 offset1:190
	ds_read2_b64 v[108:111], v163 offset0:51 offset1:168
	ds_read2_b64 v[112:115], v164 offset0:29 offset1:146
	ds_read2_b64 v[116:119], v165 offset0:7 offset1:124
	ds_read2_b64 v[120:123], v166 offset0:113 offset1:230
	ds_read2_b64 v[124:127], v167 offset0:91 offset1:208
	s_waitcnt vmcnt(15) lgkmcnt(7)
	v_mul_f32_e32 v168, v57, v129
	v_mul_f32_e32 v160, v56, v129
	s_waitcnt vmcnt(13)
	v_mul_f32_e32 v169, v59, v133
	v_mul_f32_e32 v129, v58, v133
	s_waitcnt lgkmcnt(6)
	v_mul_f32_e32 v170, v96, v131
	v_mul_f32_e32 v133, v95, v131
	s_waitcnt vmcnt(12)
	v_mul_f32_e32 v171, v98, v135
	v_mul_f32_e32 v131, v97, v135
	s_waitcnt vmcnt(11) lgkmcnt(5)
	v_mul_f32_e32 v172, v105, v137
	v_mul_f32_e32 v135, v104, v137
	s_waitcnt vmcnt(10)
	v_mul_f32_e32 v173, v107, v139
	v_mul_f32_e32 v137, v106, v139
	s_waitcnt vmcnt(9) lgkmcnt(4)
	;; [unrolled: 6-line block ×6, first 2 shown]
	v_mul_f32_e32 v182, v125, v157
	v_mul_f32_e32 v155, v124, v157
	s_waitcnt vmcnt(0)
	v_mul_f32_e32 v183, v127, v159
	v_mul_f32_e32 v157, v126, v159
	v_fma_f32 v159, v56, v128, -v168
	v_fmac_f32_e32 v160, v57, v128
	v_fma_f32 v128, v58, v132, -v169
	v_fmac_f32_e32 v129, v59, v132
	;; [unrolled: 2-line block ×16, first 2 shown]
	ds_write2_b64 v101, v[159:160], v[128:129] offset0:117 offset1:234
	ds_write2_b64 v161, v[132:133], v[130:131] offset0:95 offset1:212
	;; [unrolled: 1-line block ×8, first 2 shown]
.LBB0_13:
	s_or_b32 exec_lo, exec_lo, s2
	s_waitcnt lgkmcnt(0)
	s_barrier
	buffer_gl0_inv
	s_and_saveexec_b32 s1, vcc_lo
	s_cbranch_execz .LBB0_15
; %bb.14:
	v_add_nc_u32_e32 v56, 0x400, v101
	v_add_nc_u32_e32 v57, 0xc00, v101
	;; [unrolled: 1-line block ×3, first 2 shown]
	ds_read2_b64 v[68:71], v101 offset1:117
	v_add_nc_u32_e32 v59, 0x2800, v101
	ds_read2_b64 v[64:67], v56 offset0:106 offset1:223
	ds_read2_b64 v[76:79], v57 offset0:84 offset1:201
	v_add_nc_u32_e32 v56, 0x1c00, v101
	v_add_nc_u32_e32 v57, 0x2400, v101
	;; [unrolled: 1-line block ×3, first 2 shown]
	ds_read2_b64 v[80:83], v58 offset0:62 offset1:179
	ds_read2_b64 v[84:87], v56 offset0:40 offset1:157
	;; [unrolled: 1-line block ×5, first 2 shown]
	ds_read_b64 v[99:100], v101 offset:14976
.LBB0_15:
	s_or_b32 exec_lo, exec_lo, s1
	s_waitcnt lgkmcnt(0)
	v_sub_f32_e32 v185, v71, v100
	v_add_f32_e32 v189, v100, v71
	v_add_f32_e32 v182, v99, v70
	v_sub_f32_e32 v160, v65, v63
	v_sub_f32_e32 v186, v70, v99
	v_mul_f32_e32 v183, 0xbeb8f4ab, v185
	v_mul_f32_e32 v187, 0x3f6eb680, v189
	v_mul_f32_e32 v188, 0xbf2c7751, v185
	v_mul_f32_e32 v190, 0x3f3d2fb0, v189
	v_add_f32_e32 v121, v63, v65
	v_fma_f32 v56, 0x3f6eb680, v182, -v183
	v_add_f32_e32 v104, v62, v64
	v_mul_f32_e32 v105, 0xbf2c7751, v160
	v_mul_f32_e32 v191, 0xbf65296c, v185
	;; [unrolled: 1-line block ×3, first 2 shown]
	v_fmamk_f32 v57, v186, 0xbeb8f4ab, v187
	v_fma_f32 v58, 0x3f3d2fb0, v182, -v188
	v_fmamk_f32 v59, v186, 0xbf2c7751, v190
	v_add_f32_e32 v56, v68, v56
	v_mul_f32_e32 v196, 0xbf7ee86f, v185
	v_sub_f32_e32 v106, v64, v62
	v_mul_f32_e32 v107, 0x3f3d2fb0, v121
	v_mul_f32_e32 v110, 0xbf7ee86f, v160
	v_fma_f32 v108, 0x3f3d2fb0, v104, -v105
	v_mul_f32_e32 v113, 0x3dbcf732, v121
	v_fma_f32 v95, 0x3ee437d1, v182, -v191
	v_add_f32_e32 v57, v69, v57
	v_fmamk_f32 v96, v186, 0xbf65296c, v193
	v_add_f32_e32 v58, v68, v58
	v_add_f32_e32 v59, v69, v59
	v_mul_f32_e32 v197, 0x3dbcf732, v189
	v_fma_f32 v97, 0x3dbcf732, v182, -v196
	v_fmamk_f32 v109, v106, 0xbf2c7751, v107
	v_fma_f32 v111, 0x3dbcf732, v104, -v110
	v_add_f32_e32 v56, v108, v56
	v_mul_f32_e32 v137, 0xbf4c4adb, v160
	v_mul_f32_e32 v141, 0xbf1a4643, v121
	v_fmamk_f32 v108, v106, 0xbf7ee86f, v113
	v_mul_f32_e32 v120, 0xbe3c28d5, v160
	v_add_f32_e32 v95, v68, v95
	v_add_f32_e32 v96, v69, v96
	v_fmamk_f32 v98, v186, 0xbf7ee86f, v197
	v_add_f32_e32 v97, v68, v97
	v_add_f32_e32 v57, v109, v57
	;; [unrolled: 1-line block ×3, first 2 shown]
	v_fma_f32 v109, 0xbf1a4643, v104, -v137
	v_mul_f32_e32 v124, 0xbf7ba420, v121
	v_fmamk_f32 v111, v106, 0xbf4c4adb, v141
	v_add_f32_e32 v59, v108, v59
	v_fma_f32 v108, 0xbf7ba420, v104, -v120
	v_sub_f32_e32 v167, v67, v61
	v_add_f32_e32 v130, v61, v67
	v_add_f32_e32 v98, v69, v98
	;; [unrolled: 1-line block ×3, first 2 shown]
	v_fmamk_f32 v109, v106, 0xbe3c28d5, v124
	v_add_f32_e32 v96, v111, v96
	v_add_f32_e32 v97, v108, v97
	;; [unrolled: 1-line block ×3, first 2 shown]
	v_sub_f32_e32 v111, v66, v60
	v_mul_f32_e32 v116, 0xbf4c4adb, v167
	v_mul_f32_e32 v119, 0xbf1a4643, v130
	v_add_f32_e32 v98, v109, v98
	v_mul_f32_e32 v109, 0xbf65296c, v167
	v_mul_f32_e32 v155, 0xbf7ba420, v130
	v_fma_f32 v117, 0xbf1a4643, v108, -v116
	v_fmamk_f32 v118, v111, 0xbf4c4adb, v119
	v_mul_f32_e32 v129, 0x3f763a35, v167
	v_mul_f32_e32 v112, 0x3ee437d1, v130
	v_fma_f32 v114, 0x3ee437d1, v108, -v109
	v_mul_f32_e32 v149, 0x3e3c28d5, v167
	v_add_f32_e32 v58, v117, v58
	v_add_f32_e32 v59, v118, v59
	v_mul_f32_e32 v136, 0xbe8c1d8e, v130
	v_fmamk_f32 v117, v111, 0x3e3c28d5, v155
	v_fma_f32 v118, 0xbe8c1d8e, v108, -v129
	v_add_f32_e32 v143, v75, v77
	v_fmamk_f32 v115, v111, 0xbf65296c, v112
	v_add_f32_e32 v56, v114, v56
	v_fma_f32 v114, 0xbf7ba420, v108, -v149
	v_sub_f32_e32 v175, v77, v75
	v_fmamk_f32 v122, v111, 0x3f763a35, v136
	v_add_f32_e32 v96, v117, v96
	v_add_f32_e32 v97, v118, v97
	v_sub_f32_e32 v117, v76, v74
	v_mul_f32_e32 v118, 0x3dbcf732, v143
	v_add_f32_e32 v57, v115, v57
	v_add_f32_e32 v95, v114, v95
	;; [unrolled: 1-line block ×3, first 2 shown]
	v_mul_f32_e32 v115, 0xbf7ee86f, v175
	v_add_f32_e32 v98, v122, v98
	v_mul_f32_e32 v128, 0xbf7ba420, v143
	v_mul_f32_e32 v162, 0x3f763a35, v175
	v_fmamk_f32 v122, v117, 0xbf7ee86f, v118
	v_mul_f32_e32 v164, 0xbe8c1d8e, v143
	v_fma_f32 v123, 0x3dbcf732, v114, -v115
	v_mul_f32_e32 v127, 0xbe3c28d5, v175
	v_fmamk_f32 v125, v117, 0xbe3c28d5, v128
	v_fma_f32 v126, 0xbe8c1d8e, v114, -v162
	v_add_f32_e32 v57, v122, v57
	v_fmamk_f32 v122, v117, 0x3f763a35, v164
	v_mul_f32_e32 v139, 0x3eb8f4ab, v175
	v_sub_f32_e32 v180, v79, v73
	v_mul_f32_e32 v147, 0x3f6eb680, v143
	v_add_f32_e32 v156, v73, v79
	v_add_f32_e32 v56, v123, v56
	v_fma_f32 v123, 0xbf7ba420, v114, -v127
	v_add_f32_e32 v59, v125, v59
	v_add_f32_e32 v95, v126, v95
	;; [unrolled: 1-line block ×3, first 2 shown]
	v_fma_f32 v131, 0x3f6eb680, v114, -v139
	v_add_f32_e32 v122, v72, v78
	v_sub_f32_e32 v125, v78, v72
	v_mul_f32_e32 v126, 0xbe8c1d8e, v156
	v_fmamk_f32 v132, v117, 0x3eb8f4ab, v147
	v_mul_f32_e32 v133, 0x3f06c442, v180
	v_add_f32_e32 v58, v123, v58
	v_add_f32_e32 v97, v131, v97
	v_fmamk_f32 v131, v125, 0xbf763a35, v126
	v_add_f32_e32 v98, v132, v98
	v_fma_f32 v132, 0xbf59a7d5, v122, -v133
	v_mul_f32_e32 v138, 0xbf59a7d5, v156
	v_mul_f32_e32 v169, 0x3f2c7751, v180
	;; [unrolled: 1-line block ×3, first 2 shown]
	v_add_f32_e32 v57, v131, v57
	v_add_f32_e32 v58, v132, v58
	v_fmamk_f32 v131, v125, 0x3f06c442, v138
	v_mul_f32_e32 v152, 0xbf65296c, v180
	v_fma_f32 v132, 0x3f3d2fb0, v122, -v169
	v_mul_f32_e32 v157, 0x3ee437d1, v156
	v_fma_f32 v134, 0xbe8c1d8e, v122, -v123
	v_mul_f32_e32 v172, 0x3f3d2fb0, v156
	v_add_f32_e32 v59, v131, v59
	v_fma_f32 v131, 0x3ee437d1, v122, -v152
	v_add_f32_e32 v95, v132, v95
	v_fmamk_f32 v132, v125, 0xbf65296c, v157
	v_sub_f32_e32 v192, v81, v91
	v_add_f32_e32 v56, v134, v56
	v_fmamk_f32 v134, v125, 0x3f2c7751, v172
	v_add_f32_e32 v97, v131, v97
	v_add_f32_e32 v165, v91, v81
	;; [unrolled: 1-line block ×4, first 2 shown]
	v_mul_f32_e32 v132, 0xbf4c4adb, v192
	v_add_f32_e32 v96, v134, v96
	v_sub_f32_e32 v134, v80, v90
	v_mul_f32_e32 v135, 0xbf1a4643, v165
	v_mul_f32_e32 v144, 0x3f763a35, v192
	;; [unrolled: 1-line block ×3, first 2 shown]
	v_fma_f32 v140, 0xbf1a4643, v131, -v132
	v_mul_f32_e32 v176, 0xbeb8f4ab, v192
	v_fmamk_f32 v142, v134, 0xbf4c4adb, v135
	v_fma_f32 v145, 0xbe8c1d8e, v131, -v144
	v_fmamk_f32 v146, v134, 0x3f763a35, v148
	v_add_f32_e32 v56, v140, v56
	v_fma_f32 v140, 0x3f6eb680, v131, -v176
	v_mul_f32_e32 v178, 0x3f6eb680, v165
	v_sub_f32_e32 v198, v83, v89
	v_mul_f32_e32 v163, 0xbf06c442, v192
	v_add_f32_e32 v57, v142, v57
	v_add_f32_e32 v58, v145, v58
	v_add_f32_e32 v59, v146, v59
	v_add_f32_e32 v95, v140, v95
	v_mul_f32_e32 v166, 0xbf59a7d5, v165
	v_fmamk_f32 v145, v134, 0xbeb8f4ab, v178
	v_add_f32_e32 v142, v88, v82
	v_mul_f32_e32 v140, 0xbf06c442, v198
	v_fma_f32 v146, 0xbf59a7d5, v131, -v163
	v_add_f32_e32 v174, v89, v83
	v_fmamk_f32 v150, v134, 0xbf06c442, v166
	v_add_f32_e32 v96, v145, v96
	v_fma_f32 v151, 0xbf59a7d5, v142, -v140
	v_add_f32_e32 v97, v146, v97
	v_sub_f32_e32 v145, v82, v88
	v_mul_f32_e32 v146, 0xbf59a7d5, v174
	v_mul_f32_e32 v159, 0x3f65296c, v198
	;; [unrolled: 1-line block ×5, first 2 shown]
	v_add_f32_e32 v98, v150, v98
	v_add_f32_e32 v56, v151, v56
	v_fmamk_f32 v150, v145, 0xbf06c442, v146
	v_fma_f32 v151, 0x3ee437d1, v142, -v159
	v_fmamk_f32 v153, v145, 0x3f65296c, v161
	v_fma_f32 v154, 0x3dbcf732, v142, -v181
	v_fmamk_f32 v158, v145, 0xbf7ee86f, v184
	v_sub_f32_e32 v199, v85, v87
	v_add_f32_e32 v179, v87, v85
	v_add_f32_e32 v57, v150, v57
	;; [unrolled: 1-line block ×6, first 2 shown]
	v_mul_f32_e32 v170, 0x3f4c4adb, v198
	v_mul_f32_e32 v173, 0xbf1a4643, v174
	v_add_f32_e32 v150, v86, v84
	v_sub_f32_e32 v154, v84, v86
	v_mul_f32_e32 v151, 0xbe3c28d5, v199
	v_mul_f32_e32 v153, 0xbf7ba420, v179
	;; [unrolled: 1-line block ×3, first 2 shown]
	v_fma_f32 v58, 0xbf1a4643, v142, -v170
	v_fmamk_f32 v59, v145, 0x3f4c4adb, v173
	v_fma_f32 v168, 0xbf7ba420, v150, -v151
	v_fmamk_f32 v177, v154, 0xbe3c28d5, v153
	v_fma_f32 v194, 0x3f6eb680, v150, -v158
	v_add_f32_e32 v97, v58, v97
	v_add_f32_e32 v98, v59, v98
	;; [unrolled: 1-line block ×4, first 2 shown]
	v_mul_f32_e32 v168, 0x3f6eb680, v179
	v_add_f32_e32 v56, v194, v171
	v_mul_f32_e32 v194, 0xbf06c442, v199
	v_mul_f32_e32 v195, 0xbf59a7d5, v179
	;; [unrolled: 1-line block ×4, first 2 shown]
	v_fmamk_f32 v57, v154, 0x3eb8f4ab, v168
	v_fma_f32 v201, 0xbf59a7d5, v150, -v194
	v_fmamk_f32 v202, v154, 0xbf06c442, v195
	v_fma_f32 v203, 0x3f3d2fb0, v150, -v171
	v_fmamk_f32 v204, v154, 0x3f2c7751, v177
	v_add_f32_e32 v57, v57, v200
	v_add_f32_e32 v95, v201, v95
	;; [unrolled: 1-line block ×5, first 2 shown]
	s_barrier
	buffer_gl0_inv
	s_and_saveexec_b32 s1, vcc_lo
	s_cbranch_execz .LBB0_17
; %bb.16:
	v_add_f32_e32 v70, v70, v68
	v_add_f32_e32 v71, v71, v69
	v_mul_f32_e32 v200, 0xbeb8f4ab, v145
	v_mul_f32_e32 v201, 0xbf65296c, v175
	v_mul_f32_e32 v202, 0xbe3c28d5, v180
	v_add_f32_e32 v64, v64, v70
	v_add_f32_e32 v65, v65, v71
	v_mul_f32_e32 v70, 0xbf06c442, v186
	v_mul_f32_e32 v203, 0x3f7ee86f, v192
	v_mul_f32_e32 v204, 0xbeb8f4ab, v198
	;; [unrolled: 5-line block ×3, first 2 shown]
	v_add_f32_e32 v64, v76, v64
	v_add_f32_e32 v65, v77, v65
	v_mul_f32_e32 v76, 0xbf4c4adb, v186
	v_fmamk_f32 v67, v189, 0xbf7ba420, v66
	v_fma_f32 v66, 0xbf7ba420, v189, -v66
	v_add_f32_e32 v64, v78, v64
	v_add_f32_e32 v65, v79, v65
	v_mul_f32_e32 v78, 0xbf763a35, v186
	v_fmamk_f32 v77, v189, 0xbf1a4643, v76
	v_fma_f32 v76, 0xbf1a4643, v189, -v76
	v_add_f32_e32 v64, v80, v64
	v_add_f32_e32 v65, v81, v65
	v_mul_f32_e32 v80, 0xbf7ee86f, v186
	v_mul_f32_e32 v81, 0x3dbcf732, v182
	v_fmamk_f32 v79, v189, 0xbe8c1d8e, v78
	v_add_f32_e32 v64, v82, v64
	v_add_f32_e32 v65, v83, v65
	v_mul_f32_e32 v82, 0xbf65296c, v186
	v_mul_f32_e32 v83, 0x3ee437d1, v182
	v_fma_f32 v78, 0xbe8c1d8e, v189, -v78
	v_add_f32_e32 v64, v84, v64
	v_add_f32_e32 v65, v85, v65
	v_mul_f32_e32 v84, 0xbf2c7751, v186
	v_mul_f32_e32 v85, 0x3f3d2fb0, v182
	v_add_f32_e32 v83, v83, v191
	v_add_f32_e32 v64, v86, v64
	;; [unrolled: 1-line block ×3, first 2 shown]
	v_mul_f32_e32 v86, 0xbeb8f4ab, v186
	v_mul_f32_e32 v87, 0xbe3c28d5, v185
	v_sub_f32_e32 v84, v190, v84
	v_add_f32_e32 v64, v88, v64
	v_add_f32_e32 v65, v89, v65
	v_mul_f32_e32 v88, 0xbf06c442, v185
	v_mul_f32_e32 v89, 0xbf763a35, v185
	v_sub_f32_e32 v86, v187, v86
	v_add_f32_e32 v64, v90, v64
	v_mul_f32_e32 v90, 0xbf4c4adb, v185
	v_add_f32_e32 v65, v91, v65
	v_fma_f32 v91, 0xbf7ba420, v182, -v87
	v_fmac_f32_e32 v87, 0xbf7ba420, v182
	v_fma_f32 v185, 0xbf59a7d5, v182, -v88
	v_fmac_f32_e32 v88, 0xbf59a7d5, v182
	;; [unrolled: 2-line block ×4, first 2 shown]
	v_mul_f32_e32 v182, 0x3f6eb680, v182
	v_add_f32_e32 v64, v72, v64
	v_add_f32_e32 v65, v73, v65
	;; [unrolled: 1-line block ×6, first 2 shown]
	v_mul_f32_e32 v74, 0x3f06c442, v106
	v_add_f32_e32 v76, v69, v78
	v_add_f32_e32 v78, v68, v89
	;; [unrolled: 1-line block ×4, first 2 shown]
	v_fmamk_f32 v64, v121, 0xbf59a7d5, v74
	v_mul_f32_e32 v75, 0x3f2c7751, v111
	v_sub_f32_e32 v82, v193, v82
	v_mul_f32_e32 v193, 0xbe3c28d5, v125
	v_add_f32_e32 v81, v81, v196
	v_add_f32_e32 v64, v64, v79
	v_fmamk_f32 v65, v130, 0x3f3d2fb0, v75
	v_mul_f32_e32 v79, 0xbf65296c, v117
	v_mul_f32_e32 v196, 0x3f06c442, v160
	v_add_f32_e32 v183, v68, v187
	v_sub_f32_e32 v80, v197, v80
	v_add_f32_e32 v64, v65, v64
	v_fmamk_f32 v65, v143, 0x3ee437d1, v79
	v_add_f32_e32 v85, v85, v188
	v_add_f32_e32 v188, v69, v66
	v_mul_f32_e32 v197, 0x3f2c7751, v167
	v_mul_f32_e32 v207, 0x3f763a35, v106
	v_add_f32_e32 v64, v65, v64
	v_fmamk_f32 v65, v156, 0xbf7ba420, v193
	v_add_f32_e32 v77, v69, v77
	v_mul_f32_e32 v208, 0xbeb8f4ab, v111
	v_add_f32_e32 v187, v69, v67
	v_mul_f32_e32 v209, 0xbf06c442, v117
	v_add_f32_e32 v64, v65, v64
	v_fma_f32 v65, 0xbf59a7d5, v104, -v196
	v_fmamk_f32 v67, v130, 0x3f6eb680, v208
	v_mul_f32_e32 v210, 0x3f7ee86f, v125
	v_mul_f32_e32 v211, 0x3f763a35, v160
	v_add_f32_e32 v186, v68, v186
	v_add_f32_e32 v65, v65, v183
	v_mul_f32_e32 v183, 0x3f7ee86f, v134
	v_add_f32_e32 v185, v68, v185
	v_add_f32_e32 v91, v68, v91
	;; [unrolled: 1-line block ×4, first 2 shown]
	v_fmamk_f32 v66, v165, 0x3dbcf732, v183
	v_add_f32_e32 v90, v68, v90
	v_add_f32_e32 v81, v68, v81
	v_add_f32_e32 v83, v68, v83
	v_add_f32_e32 v85, v68, v85
	v_add_f32_e32 v64, v66, v64
	v_fma_f32 v66, 0x3f3d2fb0, v108, -v197
	v_mul_f32_e32 v212, 0xbeb8f4ab, v167
	v_mul_f32_e32 v213, 0xbe3c28d5, v145
	;; [unrolled: 1-line block ×4, first 2 shown]
	v_add_f32_e32 v65, v66, v65
	v_fmamk_f32 v66, v174, 0x3f6eb680, v200
	v_mul_f32_e32 v216, 0xbf2c7751, v192
	v_mul_f32_e32 v217, 0xbe3c28d5, v198
	;; [unrolled: 1-line block ×4, first 2 shown]
	v_add_f32_e32 v64, v66, v64
	v_fma_f32 v66, 0x3ee437d1, v114, -v201
	v_fmamk_f32 v71, v189, 0xbf59a7d5, v70
	v_mul_f32_e32 v72, 0x3f65296c, v106
	v_fma_f32 v70, 0xbf59a7d5, v189, -v70
	v_mul_f32_e32 v73, 0xbf7ee86f, v111
	v_add_f32_e32 v65, v66, v65
	v_fma_f32 v66, 0xbf7ba420, v122, -v202
	v_add_f32_e32 v71, v69, v71
	v_add_f32_e32 v189, v69, v70
	;; [unrolled: 1-line block ×5, first 2 shown]
	v_fma_f32 v66, 0x3dbcf732, v131, -v203
	v_add_f32_e32 v84, v69, v84
	v_add_f32_e32 v86, v69, v86
	v_fmamk_f32 v69, v130, 0x3dbcf732, v73
	v_mul_f32_e32 v220, 0xbeb8f4ab, v125
	v_add_f32_e32 v65, v66, v65
	v_fma_f32 v66, 0x3f6eb680, v142, -v204
	v_mul_f32_e32 v221, 0x3f65296c, v160
	v_mul_f32_e32 v222, 0xbf7ee86f, v167
	;; [unrolled: 1-line block ×3, first 2 shown]
	v_fma_f32 v74, 0xbf59a7d5, v121, -v74
	v_add_f32_e32 v66, v66, v65
	v_fmamk_f32 v65, v179, 0xbf1a4643, v205
	v_mul_f32_e32 v224, 0x3f4c4adb, v175
	v_fma_f32 v75, 0x3f3d2fb0, v130, -v75
	v_add_f32_e32 v74, v74, v76
	v_fmac_f32_e32 v196, 0xbf59a7d5, v104
	v_add_f32_e32 v65, v65, v64
	v_fma_f32 v64, 0xbf1a4643, v150, -v206
	v_mul_f32_e32 v225, 0xbeb8f4ab, v180
	v_fma_f32 v73, 0x3dbcf732, v130, -v73
	v_add_f32_e32 v74, v75, v74
	v_add_f32_e32 v75, v196, v78
	;; [unrolled: 1-line block ×3, first 2 shown]
	v_fmamk_f32 v66, v121, 0xbe8c1d8e, v207
	v_fmac_f32_e32 v197, 0x3f3d2fb0, v108
	v_mul_f32_e32 v226, 0xbe3c28d5, v192
	v_fma_f32 v76, 0x3ee437d1, v143, -v79
	v_fmac_f32_e32 v201, 0x3ee437d1, v114
	v_add_f32_e32 v66, v66, v77
	v_mul_f32_e32 v77, 0x3f4c4adb, v117
	v_add_f32_e32 v75, v197, v75
	v_mul_f32_e32 v227, 0x3f2c7751, v198
	v_add_f32_e32 v74, v76, v74
	v_add_f32_e32 v66, v67, v66
	v_fmamk_f32 v67, v143, 0xbf59a7d5, v209
	v_fma_f32 v76, 0xbf7ba420, v156, -v193
	v_add_f32_e32 v75, v201, v75
	v_fmac_f32_e32 v202, 0xbf7ba420, v122
	v_mul_f32_e32 v228, 0xbf763a35, v154
	v_add_f32_e32 v66, v67, v66
	v_fmamk_f32 v67, v156, 0x3dbcf732, v210
	v_add_f32_e32 v74, v76, v74
	v_fma_f32 v76, 0x3dbcf732, v165, -v183
	v_add_f32_e32 v75, v202, v75
	v_fmac_f32_e32 v203, 0x3dbcf732, v131
	v_add_f32_e32 v66, v67, v66
	v_fma_f32 v67, 0xbe8c1d8e, v104, -v211
	v_mul_f32_e32 v229, 0xbf763a35, v199
	v_add_f32_e32 v74, v76, v74
	v_fma_f32 v76, 0x3f6eb680, v174, -v200
	v_add_f32_e32 v75, v203, v75
	v_add_f32_e32 v67, v67, v186
	v_mul_f32_e32 v186, 0xbf2c7751, v134
	v_fmac_f32_e32 v204, 0x3f6eb680, v142
	v_mul_f32_e32 v230, 0x3eb8f4ab, v106
	v_add_f32_e32 v74, v76, v74
	v_fmac_f32_e32 v206, 0xbf1a4643, v150
	v_fmamk_f32 v68, v165, 0x3f3d2fb0, v186
	v_add_f32_e32 v76, v204, v75
	v_fma_f32 v75, 0xbf1a4643, v179, -v205
	v_fmac_f32_e32 v211, 0xbe8c1d8e, v104
	v_mul_f32_e32 v231, 0x3f2c7751, v117
	v_add_f32_e32 v66, v68, v66
	v_fma_f32 v68, 0x3f6eb680, v108, -v212
	v_add_f32_e32 v75, v75, v74
	v_add_f32_e32 v74, v206, v76
	v_mul_f32_e32 v76, 0xbf4c4adb, v106
	v_mul_f32_e32 v232, 0xbf4c4adb, v125
	v_add_f32_e32 v67, v68, v67
	v_fmamk_f32 v68, v174, 0xbf7ba420, v213
	v_mul_f32_e32 v160, 0x3eb8f4ab, v160
	v_sub_f32_e32 v76, v141, v76
	v_mul_f32_e32 v78, 0xbf1a4643, v104
	v_mul_f32_e32 v79, 0xbeb8f4ab, v134
	v_add_f32_e32 v66, v68, v66
	v_fma_f32 v68, 0xbf59a7d5, v114, -v214
	v_add_f32_e32 v76, v76, v82
	v_add_f32_e32 v78, v78, v137
	v_sub_f32_e32 v79, v178, v79
	v_mul_f32_e32 v167, 0xbf06c442, v167
	v_add_f32_e32 v67, v68, v67
	v_fma_f32 v68, 0x3dbcf732, v122, -v215
	v_mul_f32_e32 v175, 0x3f2c7751, v175
	v_mul_f32_e32 v180, 0xbf4c4adb, v180
	;; [unrolled: 1-line block ×3, first 2 shown]
	v_fmac_f32_e32 v212, 0x3f6eb680, v108
	v_add_f32_e32 v67, v68, v67
	v_fma_f32 v68, 0x3f3d2fb0, v131, -v216
	v_mul_f32_e32 v198, 0xbf763a35, v198
	v_fmac_f32_e32 v214, 0xbf59a7d5, v114
	v_mul_f32_e32 v235, 0x3f7ee86f, v154
	v_fmac_f32_e32 v215, 0x3dbcf732, v122
	v_add_f32_e32 v67, v68, v67
	v_fma_f32 v68, 0xbf7ba420, v142, -v217
	v_fmac_f32_e32 v216, 0x3f3d2fb0, v131
	v_add_f32_e32 v60, v60, v191
	v_fmac_f32_e32 v217, 0xbf7ba420, v142
	v_mul_f32_e32 v199, 0x3f7ee86f, v199
	v_add_f32_e32 v68, v68, v67
	v_fmamk_f32 v67, v179, 0x3ee437d1, v218
	v_add_f32_e32 v60, v62, v60
	v_add_f32_e32 v67, v67, v66
	v_fma_f32 v66, 0x3ee437d1, v150, -v219
	v_fmac_f32_e32 v219, 0x3ee437d1, v150
	v_add_f32_e32 v66, v66, v68
	v_fmamk_f32 v68, v121, 0x3ee437d1, v72
	v_fma_f32 v72, 0x3ee437d1, v121, -v72
	v_add_f32_e32 v68, v68, v71
	v_add_f32_e32 v72, v72, v189
	;; [unrolled: 1-line block ×3, first 2 shown]
	v_fmamk_f32 v69, v143, 0xbf1a4643, v77
	v_add_f32_e32 v72, v73, v72
	v_fma_f32 v77, 0xbf1a4643, v143, -v77
	v_add_f32_e32 v68, v69, v68
	v_fmamk_f32 v69, v156, 0x3f6eb680, v220
	v_add_f32_e32 v72, v77, v72
	v_fma_f32 v77, 0x3f6eb680, v156, -v220
	v_add_f32_e32 v68, v69, v68
	v_fma_f32 v69, 0x3ee437d1, v104, -v221
	v_fmac_f32_e32 v221, 0x3ee437d1, v104
	v_add_f32_e32 v72, v77, v72
	v_add_f32_e32 v69, v69, v185
	v_mul_f32_e32 v185, 0xbe3c28d5, v134
	v_add_f32_e32 v73, v221, v88
	v_add_f32_e32 v88, v211, v90
	v_mul_f32_e32 v90, 0xbe3c28d5, v106
	v_fmamk_f32 v70, v165, 0xbf7ba420, v185
	v_fma_f32 v77, 0xbf7ba420, v165, -v185
	v_add_f32_e32 v88, v212, v88
	v_sub_f32_e32 v90, v124, v90
	v_add_f32_e32 v68, v70, v68
	v_fma_f32 v70, 0x3dbcf732, v108, -v222
	v_fmac_f32_e32 v222, 0x3dbcf732, v108
	v_add_f32_e32 v72, v77, v72
	v_fma_f32 v77, 0x3f3d2fb0, v174, -v223
	v_add_f32_e32 v80, v90, v80
	v_add_f32_e32 v69, v70, v69
	v_fmamk_f32 v70, v174, 0x3f3d2fb0, v223
	v_add_f32_e32 v73, v222, v73
	v_add_f32_e32 v72, v77, v72
	v_mul_f32_e32 v90, 0x3f763a35, v111
	v_add_f32_e32 v88, v214, v88
	v_add_f32_e32 v68, v70, v68
	v_fma_f32 v70, 0xbf1a4643, v114, -v224
	v_fmac_f32_e32 v224, 0xbf1a4643, v114
	v_sub_f32_e32 v90, v136, v90
	v_add_f32_e32 v88, v215, v88
	v_add_f32_e32 v69, v70, v69
	v_fma_f32 v70, 0x3f6eb680, v122, -v225
	v_add_f32_e32 v73, v224, v73
	v_fmac_f32_e32 v225, 0x3f6eb680, v122
	v_add_f32_e32 v80, v90, v80
	v_mul_f32_e32 v90, 0x3eb8f4ab, v117
	v_add_f32_e32 v69, v70, v69
	v_fma_f32 v70, 0xbf7ba420, v131, -v226
	v_add_f32_e32 v73, v225, v73
	v_fmac_f32_e32 v226, 0xbf7ba420, v131
	v_sub_f32_e32 v90, v147, v90
	v_add_f32_e32 v88, v216, v88
	v_add_f32_e32 v69, v70, v69
	v_fma_f32 v70, 0x3f3d2fb0, v142, -v227
	v_add_f32_e32 v73, v226, v73
	v_fmac_f32_e32 v227, 0x3f3d2fb0, v142
	v_add_f32_e32 v80, v90, v80
	v_mul_f32_e32 v90, 0xbf65296c, v125
	v_add_f32_e32 v70, v70, v69
	v_fmamk_f32 v69, v179, 0xbe8c1d8e, v228
	v_add_f32_e32 v77, v227, v73
	v_fma_f32 v73, 0xbe8c1d8e, v179, -v228
	v_sub_f32_e32 v90, v157, v90
	v_add_f32_e32 v88, v217, v88
	v_add_f32_e32 v69, v69, v68
	v_fma_f32 v68, 0xbe8c1d8e, v150, -v229
	v_fmac_f32_e32 v229, 0xbe8c1d8e, v150
	v_add_f32_e32 v73, v73, v72
	v_add_f32_e32 v80, v90, v80
	v_mul_f32_e32 v90, 0xbf06c442, v134
	v_add_f32_e32 v68, v68, v70
	v_fmamk_f32 v70, v121, 0x3f6eb680, v230
	v_add_f32_e32 v72, v229, v77
	v_mul_f32_e32 v77, 0x3e3c28d5, v111
	v_sub_f32_e32 v90, v166, v90
	v_add_f32_e32 v70, v70, v187
	v_mul_f32_e32 v187, 0xbf06c442, v111
	v_sub_f32_e32 v77, v155, v77
	v_add_f32_e32 v80, v90, v80
	v_mul_f32_e32 v90, 0x3ee437d1, v122
	v_fmamk_f32 v71, v130, 0xbf59a7d5, v187
	v_add_f32_e32 v76, v77, v76
	v_mul_f32_e32 v77, 0x3f763a35, v117
	v_add_f32_e32 v90, v90, v152
	v_add_f32_e32 v70, v71, v70
	v_fmamk_f32 v71, v143, 0x3f3d2fb0, v231
	v_sub_f32_e32 v77, v164, v77
	v_add_f32_e32 v70, v71, v70
	v_fmamk_f32 v71, v156, 0xbf1a4643, v232
	v_add_f32_e32 v76, v77, v76
	v_mul_f32_e32 v77, 0x3f2c7751, v125
	v_add_f32_e32 v70, v71, v70
	v_fma_f32 v71, 0x3f6eb680, v104, -v160
	v_sub_f32_e32 v77, v172, v77
	v_fmac_f32_e32 v160, 0x3f6eb680, v104
	v_add_f32_e32 v71, v71, v91
	v_mul_f32_e32 v91, 0x3f65296c, v134
	v_add_f32_e32 v76, v77, v76
	v_add_f32_e32 v77, v78, v83
	v_mul_f32_e32 v78, 0xbf7ba420, v108
	v_fmamk_f32 v233, v165, 0x3ee437d1, v91
	v_fma_f32 v83, 0x3ee437d1, v165, -v91
	v_mul_f32_e32 v91, 0xbf7ba420, v104
	v_add_f32_e32 v78, v78, v149
	v_add_f32_e32 v76, v79, v76
	v_mul_f32_e32 v79, 0xbf7ee86f, v145
	v_add_f32_e32 v70, v233, v70
	v_add_f32_e32 v91, v91, v120
	;; [unrolled: 1-line block ×3, first 2 shown]
	v_mul_f32_e32 v78, 0xbe8c1d8e, v114
	v_sub_f32_e32 v79, v184, v79
	v_fma_f32 v233, 0xbf59a7d5, v108, -v167
	v_add_f32_e32 v81, v91, v81
	v_mul_f32_e32 v91, 0xbe8c1d8e, v108
	v_add_f32_e32 v78, v78, v162
	v_add_f32_e32 v76, v79, v76
	v_mul_f32_e32 v79, 0xbf06c442, v154
	v_add_f32_e32 v71, v233, v71
	v_add_f32_e32 v91, v91, v129
	;; [unrolled: 1-line block ×3, first 2 shown]
	v_mul_f32_e32 v78, 0x3f3d2fb0, v122
	v_sub_f32_e32 v79, v195, v79
	v_fma_f32 v233, 0x3f3d2fb0, v114, -v175
	v_add_f32_e32 v81, v91, v81
	v_mul_f32_e32 v91, 0x3f6eb680, v114
	v_add_f32_e32 v78, v78, v169
	v_fmac_f32_e32 v167, 0xbf59a7d5, v108
	v_add_f32_e32 v71, v233, v71
	v_mul_f32_e32 v233, 0xbf763a35, v145
	v_add_f32_e32 v91, v91, v139
	v_add_f32_e32 v77, v78, v77
	v_mul_f32_e32 v78, 0x3f6eb680, v131
	v_fmac_f32_e32 v175, 0x3f3d2fb0, v114
	v_fmamk_f32 v234, v174, 0xbe8c1d8e, v233
	v_add_f32_e32 v81, v91, v81
	v_mul_f32_e32 v91, 0x3f4c4adb, v145
	v_add_f32_e32 v78, v78, v176
	v_add_f32_e32 v70, v234, v70
	;; [unrolled: 1-line block ×3, first 2 shown]
	v_mul_f32_e32 v90, 0xbf59a7d5, v131
	v_sub_f32_e32 v91, v173, v91
	v_add_f32_e32 v77, v78, v77
	v_mul_f32_e32 v78, 0x3dbcf732, v142
	v_fma_f32 v234, 0xbf1a4643, v122, -v180
	v_add_f32_e32 v90, v90, v163
	v_add_f32_e32 v80, v91, v80
	v_mul_f32_e32 v91, 0xbf7ee86f, v106
	v_add_f32_e32 v78, v78, v181
	v_fmac_f32_e32 v180, 0xbf1a4643, v122
	v_add_f32_e32 v81, v90, v81
	v_mul_f32_e32 v90, 0xbf1a4643, v142
	v_sub_f32_e32 v91, v113, v91
	v_add_f32_e32 v78, v78, v77
	v_mul_f32_e32 v77, 0xbf59a7d5, v150
	v_add_f32_e32 v71, v234, v71
	v_add_f32_e32 v90, v90, v170
	v_fma_f32 v234, 0x3ee437d1, v131, -v192
	v_fmac_f32_e32 v192, 0x3ee437d1, v131
	v_add_f32_e32 v82, v77, v194
	v_add_f32_e32 v77, v79, v76
	;; [unrolled: 1-line block ×4, first 2 shown]
	v_mul_f32_e32 v84, 0xbf4c4adb, v111
	v_mul_f32_e32 v91, 0x3dbcf732, v104
	v_add_f32_e32 v76, v82, v78
	v_fma_f32 v78, 0x3f6eb680, v121, -v230
	v_fma_f32 v79, 0xbf59a7d5, v130, -v187
	v_sub_f32_e32 v84, v119, v84
	v_add_f32_e32 v91, v91, v110
	v_fma_f32 v82, 0xbf1a4643, v156, -v232
	v_add_f32_e32 v78, v78, v188
	v_add_f32_e32 v71, v234, v71
	;; [unrolled: 1-line block ×3, first 2 shown]
	v_mul_f32_e32 v84, 0xbe3c28d5, v117
	v_add_f32_e32 v85, v91, v85
	v_mul_f32_e32 v91, 0xbf1a4643, v108
	v_add_f32_e32 v78, v79, v78
	v_fma_f32 v79, 0x3f3d2fb0, v143, -v231
	v_sub_f32_e32 v84, v128, v84
	v_fma_f32 v234, 0xbe8c1d8e, v142, -v198
	v_add_f32_e32 v91, v91, v116
	v_fmac_f32_e32 v198, 0xbe8c1d8e, v142
	v_add_f32_e32 v78, v79, v78
	v_add_f32_e32 v81, v84, v81
	v_mul_f32_e32 v84, 0x3f06c442, v125
	v_add_f32_e32 v85, v91, v85
	v_mul_f32_e32 v91, 0xbf7ba420, v114
	v_add_f32_e32 v79, v160, v87
	v_add_f32_e32 v78, v82, v78
	v_sub_f32_e32 v84, v138, v84
	v_fma_f32 v82, 0xbe8c1d8e, v121, -v207
	v_add_f32_e32 v91, v91, v127
	v_add_f32_e32 v79, v167, v79
	;; [unrolled: 1-line block ×4, first 2 shown]
	v_mul_f32_e32 v84, 0x3f763a35, v134
	v_add_f32_e32 v85, v91, v85
	v_mul_f32_e32 v91, 0xbf59a7d5, v122
	v_add_f32_e32 v82, v82, v190
	v_fma_f32 v83, 0x3f6eb680, v130, -v208
	v_sub_f32_e32 v84, v148, v84
	v_add_f32_e32 v79, v175, v79
	v_add_f32_e32 v91, v91, v133
	v_fma_f32 v87, 0xbe8c1d8e, v174, -v233
	v_add_f32_e32 v82, v83, v82
	v_add_f32_e32 v81, v84, v81
	v_mul_f32_e32 v84, 0x3f65296c, v145
	v_add_f32_e32 v85, v91, v85
	v_mul_f32_e32 v91, 0xbe8c1d8e, v131
	v_fma_f32 v83, 0xbf59a7d5, v143, -v209
	v_add_f32_e32 v79, v180, v79
	v_sub_f32_e32 v84, v161, v84
	v_add_f32_e32 v78, v87, v78
	v_add_f32_e32 v91, v91, v144
	;; [unrolled: 1-line block ×3, first 2 shown]
	v_fma_f32 v83, 0x3dbcf732, v156, -v210
	v_add_f32_e32 v84, v84, v81
	v_add_f32_e32 v79, v192, v79
	;; [unrolled: 1-line block ×3, first 2 shown]
	v_mul_f32_e32 v85, 0x3ee437d1, v142
	v_add_f32_e32 v82, v83, v82
	v_fma_f32 v83, 0x3f3d2fb0, v165, -v186
	v_add_f32_e32 v87, v198, v79
	v_fma_f32 v79, 0x3dbcf732, v179, -v235
	v_add_f32_e32 v85, v85, v159
	v_mul_f32_e32 v113, 0x3f2c7751, v154
	v_add_f32_e32 v82, v83, v82
	v_fma_f32 v83, 0xbf7ba420, v174, -v213
	v_mul_f32_e32 v91, 0x3eb8f4ab, v154
	v_add_f32_e32 v116, v85, v81
	v_mul_f32_e32 v81, 0xbf2c7751, v106
	v_mul_f32_e32 v85, 0x3f3d2fb0, v104
	;; [unrolled: 1-line block ×3, first 2 shown]
	v_add_f32_e32 v82, v83, v82
	v_fma_f32 v83, 0x3ee437d1, v179, -v218
	v_sub_f32_e32 v81, v107, v81
	v_add_f32_e32 v85, v85, v105
	v_sub_f32_e32 v113, v177, v113
	v_add_f32_e32 v104, v104, v140
	v_add_f32_e32 v79, v79, v78
	;; [unrolled: 1-line block ×3, first 2 shown]
	v_mul_f32_e32 v86, 0xbf65296c, v111
	v_add_f32_e32 v85, v85, v89
	v_mul_f32_e32 v89, 0x3ee437d1, v108
	v_add_f32_e32 v78, v61, v182
	v_mul_f32_e32 v105, 0x3f6eb680, v150
	v_sub_f32_e32 v86, v112, v86
	v_mul_f32_e32 v110, 0x3f3d2fb0, v150
	v_add_f32_e32 v89, v89, v109
	v_add_f32_e32 v234, v234, v71
	v_fmamk_f32 v71, v179, 0x3dbcf732, v235
	v_add_f32_e32 v81, v86, v81
	v_mul_f32_e32 v86, 0xbf7ee86f, v117
	v_add_f32_e32 v85, v89, v85
	v_mul_f32_e32 v89, 0x3dbcf732, v114
	v_sub_f32_e32 v91, v168, v91
	v_add_f32_e32 v61, v83, v82
	v_sub_f32_e32 v86, v118, v86
	v_add_f32_e32 v78, v63, v78
	v_add_f32_e32 v89, v89, v115
	v_mov_b32_e32 v82, 3
	v_add_f32_e32 v105, v105, v158
	v_add_f32_e32 v81, v86, v81
	v_mul_f32_e32 v86, 0xbf763a35, v125
	v_add_f32_e32 v85, v89, v85
	v_mul_f32_e32 v89, 0xbe8c1d8e, v122
	v_add_f32_e32 v110, v110, v171
	v_add_f32_e32 v71, v71, v70
	v_sub_f32_e32 v86, v126, v86
	v_fma_f32 v70, 0x3dbcf732, v150, -v199
	v_add_f32_e32 v89, v89, v123
	v_fmac_f32_e32 v199, 0x3dbcf732, v150
	v_add_f32_e32 v83, v91, v84
	v_add_f32_e32 v81, v86, v81
	v_mul_f32_e32 v86, 0xbf4c4adb, v134
	v_add_f32_e32 v85, v89, v85
	v_mul_f32_e32 v89, 0xbf1a4643, v131
	v_add_f32_e32 v84, v99, v60
	v_add_f32_e32 v60, v219, v88
	v_sub_f32_e32 v86, v135, v86
	v_add_f32_e32 v70, v70, v234
	v_add_f32_e32 v89, v89, v132
	;; [unrolled: 1-line block ×3, first 2 shown]
	v_mul_f32_e32 v86, 0xbf06c442, v145
	v_add_f32_e32 v85, v89, v85
	v_mul_f32_e32 v89, 0xbe3c28d5, v154
	v_sub_f32_e32 v86, v146, v86
	v_add_f32_e32 v85, v104, v85
	v_sub_f32_e32 v89, v153, v89
	v_add_f32_e32 v86, v86, v81
	v_mul_f32_e32 v81, 0xbf7ba420, v150
	v_add_f32_e32 v63, v89, v86
	v_add_f32_e32 v104, v81, v151
	;; [unrolled: 1-line block ×3, first 2 shown]
	v_mul_lo_u16 v80, v102, 17
	v_add_f32_e32 v62, v104, v85
	v_add_f32_e32 v85, v100, v78
	v_lshlrev_b32_sdwa v86, v82, v80 dst_sel:DWORD dst_unused:UNUSED_PAD src0_sel:DWORD src1_sel:WORD_0
	v_add_f32_e32 v82, v105, v116
	v_add_f32_e32 v80, v110, v90
	;; [unrolled: 1-line block ×3, first 2 shown]
	ds_write2_b64 v86, v[84:85], v[62:63] offset1:1
	ds_write2_b64 v86, v[82:83], v[76:77] offset0:2 offset1:3
	ds_write2_b64 v86, v[80:81], v[74:75] offset0:4 offset1:5
	ds_write2_b64 v86, v[60:61], v[72:73] offset0:6 offset1:7
	ds_write2_b64 v86, v[78:79], v[70:71] offset0:8 offset1:9
	ds_write2_b64 v86, v[68:69], v[66:67] offset0:10 offset1:11
	ds_write2_b64 v86, v[64:65], v[97:98] offset0:12 offset1:13
	ds_write2_b64 v86, v[95:96], v[56:57] offset0:14 offset1:15
	ds_write_b64 v86, v[58:59] offset:128
.LBB0_17:
	s_or_b32 exec_lo, exec_lo, s1
	s_waitcnt lgkmcnt(0)
	s_barrier
	buffer_gl0_inv
	ds_read2_b64 v[63:66], v101 offset1:153
	v_add_nc_u32_e32 v60, 0x800, v101
	v_add_nc_u32_e32 v61, 0x1000, v101
	ds_read2_b64 v[67:70], v60 offset0:50 offset1:203
	ds_read2_b64 v[71:74], v61 offset0:100 offset1:253
	v_add_nc_u32_e32 v75, 0x1c00, v101
	v_add_nc_u32_e32 v79, 0x2400, v101
	;; [unrolled: 1-line block ×3, first 2 shown]
	ds_read_b64 v[60:61], v101 offset:14688
	ds_read2_b64 v[75:78], v75 offset0:22 offset1:175
	ds_read2_b64 v[79:82], v79 offset0:72 offset1:225
	;; [unrolled: 1-line block ×3, first 2 shown]
	s_waitcnt lgkmcnt(0)
	s_barrier
	buffer_gl0_inv
	v_mul_f32_e32 v87, v37, v66
	v_mul_f32_e32 v37, v37, v65
	v_fmac_f32_e32 v87, v36, v65
	v_fma_f32 v36, v36, v66, -v37
	v_mul_f32_e32 v37, v39, v68
	v_mul_f32_e32 v39, v39, v67
	v_mul_f32_e32 v65, v33, v70
	v_mul_f32_e32 v66, v33, v69
	v_mul_f32_e32 v88, v35, v72
	v_mul_f32_e32 v35, v35, v71
	v_mul_f32_e32 v33, v25, v74
	v_mul_f32_e32 v25, v25, v73
	v_fmac_f32_e32 v37, v38, v67
	v_fma_f32 v38, v38, v68, -v39
	v_fmac_f32_e32 v65, v32, v69
	v_fma_f32 v39, v32, v70, -v66
	;; [unrolled: 2-line block ×3, first 2 shown]
	v_fmac_f32_e32 v33, v24, v73
	v_mul_f32_e32 v32, v27, v76
	v_fma_f32 v34, v24, v74, -v25
	v_mul_f32_e32 v24, v27, v75
	v_add_f32_e32 v25, v63, v87
	v_add_f32_e32 v66, v64, v36
	v_fmac_f32_e32 v32, v26, v75
	v_mul_f32_e32 v27, v17, v78
	v_fma_f32 v26, v26, v76, -v24
	v_add_f32_e32 v24, v25, v37
	v_add_f32_e32 v25, v66, v38
	v_mul_f32_e32 v17, v17, v77
	v_fmac_f32_e32 v27, v16, v77
	v_mul_f32_e32 v66, v19, v80
	v_add_f32_e32 v24, v24, v65
	v_add_f32_e32 v25, v25, v39
	v_fma_f32 v16, v16, v78, -v17
	v_mul_f32_e32 v17, v19, v79
	v_fmac_f32_e32 v66, v18, v79
	v_add_f32_e32 v19, v24, v88
	v_add_f32_e32 v24, v25, v35
	v_mul_f32_e32 v67, v29, v82
	v_fma_f32 v17, v18, v80, -v17
	v_mul_f32_e32 v18, v29, v81
	v_add_f32_e32 v19, v19, v33
	v_add_f32_e32 v24, v24, v34
	v_mul_f32_e32 v29, v31, v84
	v_mul_f32_e32 v25, v31, v83
	v_fmac_f32_e32 v67, v28, v81
	v_add_f32_e32 v19, v19, v32
	v_add_f32_e32 v24, v24, v26
	v_fmac_f32_e32 v29, v30, v83
	v_fma_f32 v30, v30, v84, -v25
	v_mul_f32_e32 v25, v23, v60
	v_add_f32_e32 v19, v19, v27
	v_add_f32_e32 v24, v24, v16
	v_mul_f32_e32 v23, v23, v61
	v_fma_f32 v18, v28, v82, -v18
	v_fma_f32 v25, v22, v61, -v25
	v_add_f32_e32 v19, v19, v66
	v_mul_f32_e32 v28, v21, v86
	v_add_f32_e32 v24, v24, v17
	v_mul_f32_e32 v21, v21, v85
	v_fmac_f32_e32 v23, v22, v60
	v_add_f32_e32 v19, v19, v67
	v_sub_f32_e32 v22, v36, v25
	v_fmac_f32_e32 v28, v20, v85
	v_add_f32_e32 v24, v24, v18
	v_fma_f32 v20, v20, v86, -v21
	v_add_f32_e32 v19, v19, v29
	v_add_f32_e32 v31, v87, v23
	v_mul_f32_e32 v60, 0xbeedf032, v22
	v_add_f32_e32 v21, v24, v30
	v_add_f32_e32 v36, v36, v25
	;; [unrolled: 1-line block ×3, first 2 shown]
	v_sub_f32_e32 v85, v38, v20
	v_fmamk_f32 v68, v31, 0x3f62ad3f, v60
	v_add_f32_e32 v21, v21, v20
	v_sub_f32_e32 v61, v87, v23
	v_mul_f32_e32 v69, 0x3f62ad3f, v36
	v_add_f32_e32 v24, v19, v23
	v_add_f32_e32 v19, v63, v68
	v_mul_f32_e32 v23, 0xbf52af12, v22
	v_mul_f32_e32 v68, 0x3f116cb1, v36
	;; [unrolled: 1-line block ×10, first 2 shown]
	v_add_f32_e32 v87, v37, v28
	v_mul_f32_e32 v89, 0xbf52af12, v85
	v_add_f32_e32 v20, v38, v20
	v_add_f32_e32 v25, v21, v25
	v_fmamk_f32 v21, v61, 0x3eedf032, v69
	v_fma_f32 v60, 0x3f62ad3f, v31, -v60
	v_fmac_f32_e32 v69, 0xbeedf032, v61
	v_fmamk_f32 v70, v31, 0x3f116cb1, v23
	v_fmamk_f32 v71, v61, 0x3f52af12, v68
	v_fma_f32 v23, 0x3f116cb1, v31, -v23
	v_fmac_f32_e32 v68, 0xbf52af12, v61
	v_fmamk_f32 v73, v31, 0x3df6dbef, v72
	;; [unrolled: 4-line block ×5, first 2 shown]
	v_fmamk_f32 v86, v61, 0x3e750f2a, v36
	v_fma_f32 v22, 0xbf788fa5, v31, -v22
	v_fmac_f32_e32 v36, 0xbe750f2a, v61
	v_sub_f32_e32 v28, v37, v28
	v_fmamk_f32 v31, v87, 0x3f116cb1, v89
	v_mul_f32_e32 v37, 0x3f116cb1, v20
	v_add_f32_e32 v21, v64, v21
	v_add_f32_e32 v60, v63, v60
	;; [unrolled: 1-line block ×24, first 2 shown]
	v_fmamk_f32 v31, v28, 0x3f52af12, v37
	v_mul_f32_e32 v61, 0xbf6f5d39, v85
	v_fma_f32 v63, 0x3f116cb1, v87, -v89
	v_fmac_f32_e32 v37, 0xbf52af12, v28
	v_mul_f32_e32 v64, 0xbeb58ec6, v20
	v_add_f32_e32 v21, v31, v21
	v_fmamk_f32 v31, v87, 0xbeb58ec6, v61
	v_add_f32_e32 v60, v63, v60
	v_add_f32_e32 v37, v37, v69
	v_fmamk_f32 v63, v28, 0x3f6f5d39, v64
	v_mul_f32_e32 v69, 0xbe750f2a, v85
	v_fma_f32 v61, 0xbeb58ec6, v87, -v61
	v_fmac_f32_e32 v64, 0xbf6f5d39, v28
	v_add_f32_e32 v31, v31, v70
	v_add_f32_e32 v63, v63, v71
	v_fmamk_f32 v70, v87, 0xbf788fa5, v69
	v_mul_f32_e32 v71, 0xbf788fa5, v20
	v_add_f32_e32 v23, v61, v23
	v_add_f32_e32 v61, v64, v68
	v_mul_f32_e32 v64, 0x3f29c268, v85
	v_add_f32_e32 v68, v70, v73
	v_fmamk_f32 v70, v28, 0x3e750f2a, v71
	v_fma_f32 v69, 0xbf788fa5, v87, -v69
	v_fmac_f32_e32 v71, 0xbe750f2a, v28
	v_fmamk_f32 v73, v87, 0xbf3f9e67, v64
	v_mul_f32_e32 v86, 0xbf3f9e67, v20
	v_add_f32_e32 v70, v70, v76
	v_add_f32_e32 v69, v69, v72
	;; [unrolled: 1-line block ×4, first 2 shown]
	v_fmamk_f32 v73, v28, 0xbf29c268, v86
	v_mul_f32_e32 v74, 0x3f7e222b, v85
	v_fma_f32 v64, 0xbf3f9e67, v87, -v64
	v_mul_f32_e32 v76, 0x3df6dbef, v20
	v_mul_f32_e32 v20, 0x3f62ad3f, v20
	v_add_f32_e32 v73, v73, v79
	v_fmamk_f32 v77, v87, 0x3df6dbef, v74
	v_mul_f32_e32 v79, 0x3eedf032, v85
	v_fma_f32 v74, 0x3df6dbef, v87, -v74
	v_add_f32_e32 v64, v64, v75
	v_fmamk_f32 v75, v28, 0xbf7e222b, v76
	v_add_f32_e32 v77, v77, v82
	v_fmac_f32_e32 v76, 0x3f7e222b, v28
	v_fmamk_f32 v82, v87, 0x3f62ad3f, v79
	v_add_f32_e32 v74, v74, v80
	v_sub_f32_e32 v80, v39, v30
	v_add_f32_e32 v75, v75, v83
	v_add_f32_e32 v76, v76, v81
	;; [unrolled: 1-line block ×4, first 2 shown]
	v_mul_f32_e32 v84, 0xbf7e222b, v80
	v_add_f32_e32 v30, v39, v30
	v_fmac_f32_e32 v86, 0x3f29c268, v28
	v_fmamk_f32 v82, v28, 0xbeedf032, v20
	v_fma_f32 v39, 0x3f62ad3f, v87, -v79
	v_fmac_f32_e32 v20, 0x3eedf032, v28
	v_sub_f32_e32 v28, v65, v29
	v_fmamk_f32 v29, v83, 0x3df6dbef, v84
	v_mul_f32_e32 v65, 0x3df6dbef, v30
	v_add_f32_e32 v22, v39, v22
	v_add_f32_e32 v20, v20, v36
	v_mul_f32_e32 v36, 0xbe750f2a, v80
	v_add_f32_e32 v19, v29, v19
	v_fmamk_f32 v29, v28, 0x3f7e222b, v65
	v_fma_f32 v39, 0x3df6dbef, v83, -v84
	v_fmac_f32_e32 v65, 0xbf7e222b, v28
	v_mul_f32_e32 v79, 0xbf788fa5, v30
	v_add_f32_e32 v38, v82, v38
	v_add_f32_e32 v21, v29, v21
	v_fmamk_f32 v29, v83, 0xbf788fa5, v36
	v_add_f32_e32 v39, v39, v60
	v_add_f32_e32 v37, v65, v37
	v_fmamk_f32 v60, v28, 0x3e750f2a, v79
	v_mul_f32_e32 v65, 0x3f6f5d39, v80
	v_add_f32_e32 v29, v29, v31
	v_fma_f32 v31, 0xbf788fa5, v83, -v36
	v_fmac_f32_e32 v79, 0xbe750f2a, v28
	v_add_f32_e32 v36, v60, v63
	v_fmamk_f32 v60, v83, 0xbeb58ec6, v65
	v_mul_f32_e32 v63, 0xbeb58ec6, v30
	v_add_f32_e32 v23, v31, v23
	v_add_f32_e32 v31, v79, v61
	v_mul_f32_e32 v61, 0x3eedf032, v80
	v_add_f32_e32 v60, v60, v68
	v_fmamk_f32 v68, v28, 0xbf6f5d39, v63
	v_fmac_f32_e32 v63, 0x3f6f5d39, v28
	v_mul_f32_e32 v82, 0x3f62ad3f, v30
	v_fma_f32 v65, 0xbeb58ec6, v83, -v65
	v_fmamk_f32 v79, v83, 0x3f62ad3f, v61
	v_add_f32_e32 v68, v68, v70
	v_add_f32_e32 v63, v63, v71
	v_fmamk_f32 v70, v28, 0xbeedf032, v82
	v_mul_f32_e32 v71, 0xbf52af12, v80
	v_add_f32_e32 v65, v65, v69
	v_add_f32_e32 v69, v79, v72
	v_fma_f32 v61, 0x3f62ad3f, v83, -v61
	v_mul_f32_e32 v72, 0x3f116cb1, v30
	v_add_f32_e32 v70, v70, v73
	v_fmamk_f32 v73, v83, 0x3f116cb1, v71
	v_fma_f32 v71, 0x3f116cb1, v83, -v71
	v_add_f32_e32 v61, v61, v64
	v_fmamk_f32 v64, v28, 0x3f52af12, v72
	v_mul_f32_e32 v79, 0xbf29c268, v80
	v_fmac_f32_e32 v72, 0xbf52af12, v28
	v_mul_f32_e32 v30, 0xbf3f9e67, v30
	v_add_f32_e32 v71, v71, v74
	v_sub_f32_e32 v74, v35, v18
	v_add_f32_e32 v18, v35, v18
	v_fmac_f32_e32 v82, 0x3eedf032, v28
	v_add_f32_e32 v73, v73, v77
	v_add_f32_e32 v64, v64, v75
	v_fmamk_f32 v75, v83, 0xbf3f9e67, v79
	v_add_f32_e32 v72, v72, v76
	v_fmamk_f32 v76, v28, 0x3f29c268, v30
	v_add_f32_e32 v77, v88, v67
	v_mul_f32_e32 v80, 0xbf6f5d39, v74
	v_fma_f32 v35, 0xbf3f9e67, v83, -v79
	v_fmac_f32_e32 v30, 0xbf29c268, v28
	v_sub_f32_e32 v28, v88, v67
	v_mul_f32_e32 v79, 0xbeb58ec6, v18
	v_fmamk_f32 v67, v77, 0xbeb58ec6, v80
	v_add_f32_e32 v22, v35, v22
	v_add_f32_e32 v20, v30, v20
	v_mul_f32_e32 v35, 0x3f29c268, v74
	v_fmamk_f32 v30, v28, 0x3f6f5d39, v79
	v_add_f32_e32 v38, v76, v38
	v_add_f32_e32 v19, v67, v19
	v_fma_f32 v67, 0xbeb58ec6, v77, -v80
	v_fmac_f32_e32 v79, 0xbf6f5d39, v28
	v_mul_f32_e32 v76, 0xbf3f9e67, v18
	v_add_f32_e32 v21, v30, v21
	v_fmamk_f32 v30, v77, 0xbf3f9e67, v35
	v_add_f32_e32 v39, v67, v39
	v_add_f32_e32 v37, v79, v37
	v_fmamk_f32 v67, v28, 0xbf29c268, v76
	v_mul_f32_e32 v79, 0x3eedf032, v74
	v_add_f32_e32 v29, v30, v29
	v_fma_f32 v30, 0xbf3f9e67, v77, -v35
	v_fmac_f32_e32 v76, 0x3f29c268, v28
	v_add_f32_e32 v35, v67, v36
	v_fmamk_f32 v36, v77, 0x3f62ad3f, v79
	v_mul_f32_e32 v67, 0x3f62ad3f, v18
	v_add_f32_e32 v23, v30, v23
	v_add_f32_e32 v30, v76, v31
	v_mul_f32_e32 v31, 0xbf7e222b, v74
	v_add_f32_e32 v36, v36, v60
	v_fmamk_f32 v60, v28, 0xbeedf032, v67
	v_fma_f32 v76, 0x3f62ad3f, v77, -v79
	v_fmac_f32_e32 v67, 0x3eedf032, v28
	v_fmamk_f32 v79, v77, 0x3df6dbef, v31
	v_mul_f32_e32 v80, 0x3df6dbef, v18
	v_add_f32_e32 v60, v60, v68
	v_add_f32_e32 v65, v76, v65
	;; [unrolled: 1-line block ×4, first 2 shown]
	v_fmamk_f32 v68, v28, 0x3f7e222b, v80
	v_mul_f32_e32 v69, 0x3e750f2a, v74
	v_fma_f32 v31, 0x3df6dbef, v77, -v31
	v_mul_f32_e32 v76, 0xbf788fa5, v18
	v_mul_f32_e32 v74, 0x3f52af12, v74
	v_add_f32_e32 v68, v68, v70
	v_fmamk_f32 v70, v77, 0xbf788fa5, v69
	v_add_f32_e32 v31, v31, v61
	v_fmamk_f32 v61, v28, 0xbe750f2a, v76
	v_fma_f32 v69, 0xbf788fa5, v77, -v69
	v_add_f32_e32 v75, v75, v81
	v_fmac_f32_e32 v76, 0x3e750f2a, v28
	v_mul_f32_e32 v18, 0x3f116cb1, v18
	v_add_f32_e32 v61, v61, v64
	v_fmamk_f32 v64, v77, 0x3f116cb1, v74
	v_add_f32_e32 v69, v69, v71
	v_sub_f32_e32 v71, v34, v17
	v_add_f32_e32 v72, v76, v72
	v_add_f32_e32 v17, v34, v17
	;; [unrolled: 1-line block ×4, first 2 shown]
	v_mul_f32_e32 v76, 0xbf29c268, v71
	v_fmac_f32_e32 v80, 0xbf7e222b, v28
	v_add_f32_e32 v70, v70, v73
	v_fmamk_f32 v73, v28, 0xbf52af12, v18
	v_fmac_f32_e32 v18, 0x3f52af12, v28
	v_sub_f32_e32 v28, v33, v66
	v_fmamk_f32 v33, v75, 0xbf3f9e67, v76
	v_mul_f32_e32 v66, 0xbf3f9e67, v17
	v_fma_f32 v34, 0x3f116cb1, v77, -v74
	v_add_f32_e32 v18, v18, v20
	v_add_f32_e32 v38, v73, v38
	;; [unrolled: 1-line block ×3, first 2 shown]
	v_fmamk_f32 v20, v28, 0x3f29c268, v66
	v_mul_f32_e32 v33, 0x3f7e222b, v71
	v_add_f32_e32 v22, v34, v22
	v_fma_f32 v34, 0xbf3f9e67, v75, -v76
	v_fmac_f32_e32 v66, 0xbf29c268, v28
	v_mul_f32_e32 v73, 0x3df6dbef, v17
	v_add_f32_e32 v20, v20, v21
	v_fmamk_f32 v21, v75, 0x3df6dbef, v33
	v_add_f32_e32 v34, v34, v39
	v_add_f32_e32 v37, v66, v37
	v_fmamk_f32 v39, v28, 0xbf7e222b, v73
	v_mul_f32_e32 v66, 0xbf52af12, v71
	v_add_f32_e32 v21, v21, v29
	v_fma_f32 v29, 0x3df6dbef, v75, -v33
	v_fmac_f32_e32 v73, 0x3f7e222b, v28
	v_add_f32_e32 v33, v39, v35
	v_fmamk_f32 v35, v75, 0x3f116cb1, v66
	v_mul_f32_e32 v39, 0x3f116cb1, v17
	v_add_f32_e32 v74, v29, v23
	v_mul_f32_e32 v23, 0x3e750f2a, v71
	v_add_f32_e32 v30, v73, v30
	v_add_f32_e32 v35, v35, v36
	v_fmamk_f32 v29, v28, 0x3f52af12, v39
	v_fma_f32 v36, 0x3f116cb1, v75, -v66
	v_mul_f32_e32 v73, 0xbf788fa5, v17
	v_fmac_f32_e32 v39, 0xbf52af12, v28
	v_fmamk_f32 v66, v75, 0xbf788fa5, v23
	v_add_f32_e32 v60, v29, v60
	v_add_f32_e32 v36, v36, v65
	v_fmamk_f32 v29, v28, 0xbe750f2a, v73
	v_mul_f32_e32 v65, 0x3eedf032, v71
	v_add_f32_e32 v39, v39, v63
	v_add_f32_e32 v63, v66, v67
	v_fma_f32 v23, 0xbf788fa5, v75, -v23
	v_mul_f32_e32 v66, 0x3f62ad3f, v17
	v_add_f32_e32 v67, v29, v68
	v_fmamk_f32 v29, v75, 0x3f62ad3f, v65
	v_add_f32_e32 v78, v86, v78
	v_add_f32_e32 v68, v23, v31
	v_fmamk_f32 v23, v28, 0xbeedf032, v66
	v_mul_f32_e32 v31, 0xbf6f5d39, v71
	v_fmac_f32_e32 v66, 0x3eedf032, v28
	v_add_f32_e32 v70, v29, v70
	v_fma_f32 v29, 0x3f62ad3f, v75, -v65
	v_add_f32_e32 v78, v82, v78
	v_add_f32_e32 v61, v23, v61
	v_fmamk_f32 v23, v75, 0xbeb58ec6, v31
	v_mul_f32_e32 v17, 0xbeb58ec6, v17
	v_add_f32_e32 v66, v66, v72
	v_add_f32_e32 v72, v26, v16
	;; [unrolled: 1-line block ×3, first 2 shown]
	v_sub_f32_e32 v69, v26, v16
	v_add_f32_e32 v78, v80, v78
	v_fmac_f32_e32 v73, 0x3e750f2a, v28
	v_add_f32_e32 v64, v23, v64
	v_fmamk_f32 v23, v28, 0x3f6f5d39, v17
	v_fma_f32 v16, 0xbeb58ec6, v75, -v31
	v_fmac_f32_e32 v17, 0xbf6f5d39, v28
	v_sub_f32_e32 v75, v32, v27
	v_mul_f32_e32 v28, 0xbf788fa5, v72
	v_add_f32_e32 v71, v32, v27
	v_mul_f32_e32 v29, 0xbe750f2a, v69
	v_add_f32_e32 v73, v73, v78
	v_add_f32_e32 v77, v16, v22
	v_add_f32_e32 v78, v17, v18
	v_fmamk_f32 v16, v75, 0x3e750f2a, v28
	v_mul_f32_e32 v17, 0x3eedf032, v69
	v_fmamk_f32 v26, v71, 0xbf788fa5, v29
	v_fmac_f32_e32 v28, 0xbe750f2a, v75
	v_fma_f32 v18, 0xbf788fa5, v71, -v29
	v_add_f32_e32 v27, v16, v20
	v_fmamk_f32 v16, v71, 0x3f62ad3f, v17
	v_add_f32_e32 v26, v26, v19
	v_mul_f32_e32 v19, 0x3f62ad3f, v72
	v_mul_f32_e32 v31, 0xbf29c268, v69
	v_add_f32_e32 v76, v23, v38
	v_add_f32_e32 v23, v28, v37
	;; [unrolled: 1-line block ×3, first 2 shown]
	v_fma_f32 v16, 0x3f62ad3f, v71, -v17
	v_add_f32_e32 v22, v18, v34
	v_fmamk_f32 v18, v75, 0xbeedf032, v19
	v_fmac_f32_e32 v19, 0x3eedf032, v75
	v_fmamk_f32 v17, v71, 0xbf3f9e67, v31
	v_mul_f32_e32 v32, 0xbf3f9e67, v72
	v_add_f32_e32 v20, v16, v74
	v_mul_f32_e32 v16, 0x3f52af12, v69
	v_add_f32_e32 v21, v19, v30
	v_add_f32_e32 v30, v17, v35
	v_fmamk_f32 v17, v75, 0x3f29c268, v32
	v_mul_f32_e32 v37, 0xbeb58ec6, v72
	v_add_f32_e32 v29, v18, v33
	v_fma_f32 v18, 0xbf3f9e67, v71, -v31
	v_fmac_f32_e32 v32, 0xbf29c268, v75
	v_fmamk_f32 v33, v71, 0x3f116cb1, v16
	v_mul_f32_e32 v34, 0x3f116cb1, v72
	v_mul_f32_e32 v35, 0xbf6f5d39, v69
	v_add_f32_e32 v31, v17, v60
	v_fmamk_f32 v38, v75, 0x3f6f5d39, v37
	v_mul_f32_e32 v60, 0x3f7e222b, v69
	v_add_f32_e32 v18, v18, v36
	v_add_f32_e32 v19, v32, v39
	;; [unrolled: 1-line block ×3, first 2 shown]
	v_fmamk_f32 v17, v75, 0xbf52af12, v34
	v_fmac_f32_e32 v34, 0x3f52af12, v75
	v_fmamk_f32 v36, v71, 0xbeb58ec6, v35
	v_fma_f32 v39, 0xbeb58ec6, v71, -v35
	v_mul_f32_e32 v63, 0x3df6dbef, v72
	v_add_f32_e32 v35, v38, v61
	v_fmamk_f32 v38, v71, 0x3df6dbef, v60
	v_add_f32_e32 v33, v17, v67
	v_add_f32_e32 v17, v34, v73
	;; [unrolled: 1-line block ×4, first 2 shown]
	v_fmamk_f32 v39, v75, 0xbf7e222b, v63
	v_fma_f32 v60, 0x3df6dbef, v71, -v60
	v_fmac_f32_e32 v63, 0x3f7e222b, v75
	v_fma_f32 v16, 0x3f116cb1, v71, -v16
	v_fmac_f32_e32 v37, 0xbf6f5d39, v75
	v_add_nc_u32_e32 v65, 0xd00, v101
	v_add_f32_e32 v38, v38, v64
	v_add_nc_u32_e32 v64, 0x1b00, v101
	v_add_f32_e32 v39, v39, v76
	v_add_f32_e32 v60, v60, v77
	v_add_f32_e32 v61, v63, v78
	v_add_nc_u32_e32 v63, 0x2900, v101
	v_add_f32_e32 v16, v16, v68
	v_add_f32_e32 v37, v37, v66
	ds_write2_b64 v103, v[24:25], v[26:27] offset1:17
	ds_write2_b64 v103, v[28:29], v[30:31] offset0:34 offset1:51
	ds_write2_b64 v103, v[32:33], v[34:35] offset0:68 offset1:85
	;; [unrolled: 1-line block ×5, first 2 shown]
	ds_write_b64 v103, v[22:23] offset:1632
	s_waitcnt lgkmcnt(0)
	s_barrier
	buffer_gl0_inv
	ds_read2_b64 v[24:27], v101 offset1:221
	ds_read2_b64 v[36:39], v65 offset0:26 offset1:247
	ds_read2_b64 v[32:35], v64 offset0:20 offset1:241
	;; [unrolled: 1-line block ×3, first 2 shown]
	ds_read_b64 v[60:61], v101 offset:14144
	s_and_saveexec_b32 s1, s0
	s_cbranch_execz .LBB0_19
; %bb.18:
	v_add_nc_u32_e32 v16, 0x2000, v101
	v_add_nc_u32_e32 v20, 0x1200, v101
	ds_read2_b64 v[56:59], v62 offset0:7 offset1:228
	ds_read2_b64 v[66:69], v16 offset0:13 offset1:234
	v_add_nc_u32_e32 v16, 0x400, v101
	ds_read_b64 v[93:94], v101 offset:15368
	ds_read2_b64 v[16:19], v16 offset0:25 offset1:246
	ds_read2_b64 v[20:23], v20 offset0:19 offset1:240
	s_waitcnt lgkmcnt(3)
	v_mov_b32_e32 v95, v68
	v_mov_b32_e32 v96, v69
	;; [unrolled: 1-line block ×4, first 2 shown]
.LBB0_19:
	s_or_b32 exec_lo, exec_lo, s1
	s_waitcnt lgkmcnt(4)
	v_mul_f32_e32 v62, v53, v27
	s_waitcnt lgkmcnt(3)
	v_mul_f32_e32 v66, v55, v37
	v_mul_f32_e32 v55, v55, v36
	;; [unrolled: 1-line block ×4, first 2 shown]
	v_fmac_f32_e32 v62, v52, v26
	v_mul_f32_e32 v26, v49, v38
	v_fmac_f32_e32 v66, v54, v36
	v_fma_f32 v36, v54, v37, -v55
	s_waitcnt lgkmcnt(2)
	v_mul_f32_e32 v37, v51, v33
	v_fmac_f32_e32 v67, v48, v38
	v_mul_f32_e32 v38, v51, v32
	v_fma_f32 v26, v48, v39, -v26
	v_mul_f32_e32 v39, v45, v35
	v_mul_f32_e32 v45, v45, v34
	s_waitcnt lgkmcnt(1)
	v_mul_f32_e32 v48, v47, v29
	v_fmac_f32_e32 v37, v50, v32
	s_waitcnt lgkmcnt(0)
	v_mul_f32_e32 v32, v43, v61
	v_fma_f32 v38, v50, v33, -v38
	v_mul_f32_e32 v33, v43, v60
	v_fmac_f32_e32 v39, v44, v34
	v_fma_f32 v44, v44, v35, -v45
	v_fmac_f32_e32 v48, v46, v28
	v_mul_f32_e32 v28, v47, v28
	v_mul_f32_e32 v34, v41, v31
	;; [unrolled: 1-line block ×3, first 2 shown]
	v_fmac_f32_e32 v32, v42, v60
	v_fma_f32 v27, v52, v27, -v53
	v_fma_f32 v33, v42, v61, -v33
	;; [unrolled: 1-line block ×3, first 2 shown]
	v_fmac_f32_e32 v34, v40, v30
	v_fma_f32 v29, v40, v31, -v35
	v_sub_f32_e32 v31, v62, v32
	v_sub_f32_e32 v40, v27, v33
	v_add_f32_e32 v41, v62, v32
	v_add_f32_e32 v46, v27, v33
	v_sub_f32_e32 v51, v37, v39
	v_add_f32_e32 v55, v38, v44
	v_sub_f32_e32 v42, v66, v34
	v_mul_f32_e32 v45, 0x3f248dbb, v31
	v_sub_f32_e32 v43, v36, v29
	v_mul_f32_e32 v30, 0x3f248dbb, v40
	v_add_f32_e32 v50, v66, v34
	v_add_f32_e32 v36, v36, v29
	v_fmamk_f32 v27, v41, 0x3f441b7d, v24
	v_fmamk_f32 v29, v46, 0x3f441b7d, v25
	v_add_f32_e32 v54, v37, v39
	v_mul_f32_e32 v33, 0xbf248dbb, v51
	v_fmamk_f32 v34, v55, 0x3f441b7d, v25
	v_sub_f32_e32 v47, v67, v48
	v_fmac_f32_e32 v45, 0x3f7c1c5c, v42
	v_sub_f32_e32 v49, v26, v28
	v_fmac_f32_e32 v30, 0x3f7c1c5c, v43
	v_add_f32_e32 v48, v67, v48
	v_sub_f32_e32 v52, v38, v44
	v_add_f32_e32 v53, v26, v28
	v_fmac_f32_e32 v27, 0x3e31d0d4, v50
	v_fmac_f32_e32 v29, 0x3e31d0d4, v36
	v_fmamk_f32 v28, v54, 0x3f441b7d, v24
	v_fmac_f32_e32 v33, 0x3f7c1c5c, v31
	v_fmac_f32_e32 v34, 0x3e31d0d4, v46
	;; [unrolled: 1-line block ×4, first 2 shown]
	v_fmac_f32_e32 v27, -0.5, v48
	v_mul_f32_e32 v32, 0xbf248dbb, v52
	v_fmac_f32_e32 v29, -0.5, v53
	v_fmac_f32_e32 v28, 0x3e31d0d4, v41
	v_fmac_f32_e32 v33, 0xbf5db3d7, v47
	v_fmac_f32_e32 v34, -0.5, v53
	v_fmac_f32_e32 v45, 0x3eaf1d44, v51
	v_add_f32_e32 v35, v51, v31
	v_mul_f32_e32 v51, 0x3f7c1c5c, v51
	v_fmac_f32_e32 v30, 0x3eaf1d44, v52
	v_fmac_f32_e32 v32, 0x3f7c1c5c, v40
	;; [unrolled: 1-line block ×3, first 2 shown]
	v_fmac_f32_e32 v28, -0.5, v48
	v_fmac_f32_e32 v29, 0xbf708fb2, v55
	v_fmac_f32_e32 v33, 0x3eaf1d44, v42
	;; [unrolled: 1-line block ×3, first 2 shown]
	v_sub_f32_e32 v60, v35, v42
	v_fma_f32 v42, 0xbf248dbb, v42, -v51
	v_fmac_f32_e32 v32, 0xbf5db3d7, v49
	v_fmac_f32_e32 v28, 0xbf708fb2, v50
	v_sub_f32_e32 v26, v27, v30
	v_add_f32_e32 v27, v45, v29
	v_add_f32_e32 v29, v33, v34
	;; [unrolled: 1-line block ×4, first 2 shown]
	v_mul_f32_e32 v52, 0x3f7c1c5c, v52
	v_fmamk_f32 v50, v50, 0x3f441b7d, v24
	v_fmamk_f32 v51, v36, 0x3f441b7d, v25
	v_add_f32_e32 v67, v36, v46
	v_fmac_f32_e32 v42, 0x3f5db3d7, v47
	v_fmac_f32_e32 v32, 0x3eaf1d44, v43
	v_sub_f32_e32 v61, v34, v43
	v_fma_f32 v43, 0xbf248dbb, v43, -v52
	v_fmac_f32_e32 v50, 0x3e31d0d4, v54
	v_fmac_f32_e32 v51, 0x3e31d0d4, v55
	;; [unrolled: 1-line block ×3, first 2 shown]
	v_add_f32_e32 v31, v48, v62
	v_add_f32_e32 v36, v53, v67
	v_fmac_f32_e32 v43, 0x3f5db3d7, v49
	v_fmac_f32_e32 v50, -0.5, v48
	v_fmac_f32_e32 v51, -0.5, v53
	v_add_f32_e32 v34, v48, v24
	v_add_f32_e32 v35, v53, v25
	;; [unrolled: 1-line block ×6, first 2 shown]
	v_fmac_f32_e32 v43, 0x3eaf1d44, v40
	v_fmac_f32_e32 v50, 0xbf708fb2, v41
	;; [unrolled: 1-line block ×3, first 2 shown]
	v_fmac_f32_e32 v34, -0.5, v68
	v_fmac_f32_e32 v35, -0.5, v69
	v_add_f32_e32 v31, v39, v31
	v_add_f32_e32 v39, v44, v36
	v_sub_f32_e32 v36, v50, v43
	v_add_f32_e32 v37, v42, v51
	v_sub_f32_e32 v28, v28, v32
	v_mul_f32_e32 v66, 0x3f5db3d7, v60
	v_mul_f32_e32 v70, 0x3f5db3d7, v61
	v_fmac_f32_e32 v34, 0xbf5db3d7, v61
	v_fmac_f32_e32 v35, 0x3f5db3d7, v60
	v_add_f32_e32 v24, v31, v24
	v_add_f32_e32 v25, v39, v25
	v_fma_f32 v40, 2.0, v43, v36
	v_fma_f32 v41, -2.0, v42, v37
	v_fma_f32 v32, 2.0, v32, v28
	v_fma_f32 v33, -2.0, v33, v29
	;; [unrolled: 2-line block ×4, first 2 shown]
	ds_write2_b64 v101, v[24:25], v[26:27] offset1:221
	ds_write2_b64 v65, v[28:29], v[34:35] offset0:26 offset1:247
	ds_write2_b64 v64, v[36:37], v[40:41] offset0:20 offset1:241
	;; [unrolled: 1-line block ×3, first 2 shown]
	ds_write_b64 v101, v[30:31] offset:14144
	s_and_saveexec_b32 s1, s0
	s_cbranch_execz .LBB0_21
; %bb.20:
	v_mul_f32_e32 v28, v3, v21
	v_mul_f32_e32 v30, v5, v59
	;; [unrolled: 1-line block ×6, first 2 shown]
	v_fmac_f32_e32 v28, v2, v20
	v_fmac_f32_e32 v30, v4, v58
	v_fmac_f32_e32 v31, v10, v97
	v_fmac_f32_e32 v32, v12, v95
	v_fma_f32 v4, v4, v59, -v5
	v_fma_f32 v2, v2, v21, -v3
	v_mul_f32_e32 v3, v13, v95
	v_mul_f32_e32 v5, v11, v97
	;; [unrolled: 1-line block ×4, first 2 shown]
	v_sub_f32_e32 v13, v31, v32
	v_add_f32_e32 v20, v4, v2
	v_fma_f32 v12, v12, v96, -v3
	v_fma_f32 v10, v10, v98, -v5
	v_mul_f32_e32 v3, v15, v56
	v_mul_f32_e32 v5, v9, v22
	;; [unrolled: 1-line block ×4, first 2 shown]
	v_fmac_f32_e32 v24, v8, v22
	v_fmac_f32_e32 v25, v14, v56
	v_sub_f32_e32 v11, v28, v30
	v_mul_f32_e32 v9, 0x3f7c1c5c, v13
	v_fmamk_f32 v15, v20, 0x3f441b7d, v17
	v_add_f32_e32 v21, v12, v10
	v_fma_f32 v3, v14, v57, -v3
	v_fma_f32 v5, v8, v23, -v5
	v_mul_f32_e32 v7, v7, v93
	v_mul_f32_e32 v1, v1, v18
	v_fmac_f32_e32 v26, v0, v18
	v_fmac_f32_e32 v27, v6, v93
	v_sub_f32_e32 v29, v24, v25
	v_fma_f32 v8, 0xbf248dbb, v11, -v9
	v_fmac_f32_e32 v15, 0x3e31d0d4, v21
	v_add_f32_e32 v14, v3, v5
	v_fma_f32 v6, v6, v94, -v7
	v_fma_f32 v0, v0, v19, -v1
	v_sub_f32_e32 v18, v26, v27
	v_sub_f32_e32 v19, v10, v12
	v_fmac_f32_e32 v8, 0x3f5db3d7, v29
	v_fmac_f32_e32 v15, -0.5, v14
	v_add_f32_e32 v22, v6, v0
	v_add_f32_e32 v28, v30, v28
	v_sub_f32_e32 v23, v2, v4
	v_mul_f32_e32 v1, 0x3f7c1c5c, v19
	v_fmac_f32_e32 v8, 0x3eaf1d44, v18
	v_fmac_f32_e32 v15, 0xbf708fb2, v22
	v_fmamk_f32 v4, v28, 0x3f441b7d, v16
	v_add_f32_e32 v33, v32, v31
	v_sub_f32_e32 v30, v5, v3
	v_fma_f32 v2, 0xbf248dbb, v23, -v1
	v_add_f32_e32 v1, v8, v15
	v_sub_f32_e32 v15, v0, v6
	v_add_f32_e32 v26, v27, v26
	v_fmac_f32_e32 v4, 0x3e31d0d4, v33
	v_add_f32_e32 v24, v25, v24
	v_add_f32_e32 v0, v20, v22
	v_fmac_f32_e32 v2, 0x3f5db3d7, v30
	v_add_f32_e32 v25, v28, v26
	v_fma_f32 v3, -2.0, v8, v1
	v_fmac_f32_e32 v4, -0.5, v24
	v_add_f32_e32 v6, v14, v0
	v_fmac_f32_e32 v2, 0x3eaf1d44, v15
	v_add_f32_e32 v7, v24, v25
	v_add_f32_e32 v8, v13, v18
	v_add_f32_e32 v5, v14, v17
	v_add_f32_e32 v0, v21, v0
	v_fmac_f32_e32 v4, 0xbf708fb2, v26
	v_add_f32_e32 v6, v10, v6
	v_add_f32_e32 v7, v31, v7
	v_sub_f32_e32 v8, v8, v11
	v_fmac_f32_e32 v5, -0.5, v0
	v_sub_f32_e32 v0, v4, v2
	v_add_f32_e32 v4, v12, v6
	v_add_f32_e32 v10, v33, v25
	v_fmamk_f32 v25, v21, 0x3f441b7d, v17
	v_add_f32_e32 v6, v32, v7
	v_mul_f32_e32 v9, 0x3f5db3d7, v8
	v_fmac_f32_e32 v5, 0x3f5db3d7, v8
	v_add_f32_e32 v7, v17, v4
	v_add_f32_e32 v8, v19, v15
	;; [unrolled: 1-line block ×3, first 2 shown]
	v_fmac_f32_e32 v25, 0x3e31d0d4, v22
	v_mul_f32_e32 v12, 0xbf248dbb, v13
	v_fmac_f32_e32 v17, 0x3f441b7d, v22
	v_sub_f32_e32 v8, v8, v23
	v_fmac_f32_e32 v4, -0.5, v10
	v_fmac_f32_e32 v25, -0.5, v14
	v_fmac_f32_e32 v12, 0x3f7c1c5c, v18
	v_mul_f32_e32 v18, 0x3f248dbb, v18
	v_mul_f32_e32 v27, 0xbf248dbb, v19
	;; [unrolled: 1-line block ×3, first 2 shown]
	v_fmac_f32_e32 v4, 0xbf5db3d7, v8
	v_fmamk_f32 v8, v33, 0x3f441b7d, v16
	v_add_f32_e32 v6, v16, v6
	v_fmac_f32_e32 v25, 0xbf708fb2, v20
	v_fmac_f32_e32 v17, 0x3e31d0d4, v20
	v_mul_f32_e32 v20, 0x3f248dbb, v15
	v_fmac_f32_e32 v16, 0x3f441b7d, v26
	v_fmac_f32_e32 v18, 0x3f7c1c5c, v11
	;; [unrolled: 1-line block ×8, first 2 shown]
	v_fmac_f32_e32 v17, -0.5, v14
	v_fmac_f32_e32 v27, 0xbf5db3d7, v30
	v_fmac_f32_e32 v8, -0.5, v24
	v_fmac_f32_e32 v12, 0x3eaf1d44, v11
	v_fmac_f32_e32 v20, 0x3f5db3d7, v30
	v_fmac_f32_e32 v16, -0.5, v24
	v_fmac_f32_e32 v18, 0x3eaf1d44, v13
	v_fmac_f32_e32 v17, 0xbf708fb2, v21
	;; [unrolled: 1-line block ×4, first 2 shown]
	v_add_f32_e32 v11, v12, v25
	v_fmac_f32_e32 v20, 0x3eaf1d44, v19
	v_fmac_f32_e32 v16, 0xbf708fb2, v33
	v_add_f32_e32 v13, v18, v17
	v_sub_f32_e32 v10, v8, v27
	v_fma_f32 v15, -2.0, v12, v11
	v_add_nc_u32_e32 v19, 0x1200, v101
	v_sub_f32_e32 v12, v16, v20
	v_fma_f32 v17, -2.0, v18, v13
	v_add_nc_u32_e32 v18, 0x400, v101
	v_fma_f32 v2, 2.0, v2, v0
	v_add_nc_u32_e32 v21, 0x2000, v101
	v_fma_f32 v9, -2.0, v9, v5
	v_fma_f32 v8, 2.0, v31, v4
	v_fma_f32 v14, 2.0, v27, v10
	v_add_nc_u32_e32 v22, 0x2e00, v101
	v_fma_f32 v16, 2.0, v20, v12
	ds_write2_b64 v18, v[6:7], v[12:13] offset0:25 offset1:246
	ds_write2_b64 v19, v[10:11], v[4:5] offset0:19 offset1:240
	;; [unrolled: 1-line block ×4, first 2 shown]
	ds_write_b64 v101, v[16:17] offset:15368
.LBB0_21:
	s_or_b32 exec_lo, exec_lo, s1
	s_waitcnt lgkmcnt(0)
	s_barrier
	buffer_gl0_inv
	s_and_b32 exec_lo, exec_lo, vcc_lo
	s_cbranch_execz .LBB0_23
; %bb.22:
	global_load_dwordx2 v[0:1], v101, s[12:13]
	ds_read_b64 v[2:3], v101
	s_mov_b32 s0, 0x10798010
	s_mov_b32 s1, 0x3f407980
	v_mad_u64_u32 v[6:7], null, s4, v102, 0
	s_mul_i32 s2, s5, 0x3a8
	s_mul_i32 s3, s4, 0x3a8
	s_waitcnt vmcnt(0) lgkmcnt(0)
	v_mul_f32_e32 v4, v3, v1
	v_mul_f32_e32 v1, v2, v1
	v_fmac_f32_e32 v4, v2, v0
	v_fma_f32 v2, v0, v3, -v1
	v_cvt_f64_f32_e32 v[0:1], v4
	v_cvt_f64_f32_e32 v[2:3], v2
	v_mad_u64_u32 v[4:5], null, s6, v92, 0
	v_mad_u64_u32 v[8:9], null, s7, v92, v[5:6]
	;; [unrolled: 1-line block ×3, first 2 shown]
	v_mov_b32_e32 v5, v8
	s_mul_hi_u32 s5, s4, 0x3a8
	v_mul_f64 v[0:1], v[0:1], s[0:1]
	v_mul_f64 v[2:3], v[2:3], s[0:1]
	s_add_i32 s2, s5, s2
	v_add_co_u32 v10, s4, s12, v101
	v_mov_b32_e32 v7, v9
	v_add_co_ci_u32_e64 v11, null, s13, 0, s4
	v_cvt_f32_f64_e32 v0, v[0:1]
	v_cvt_f32_f64_e32 v1, v[2:3]
	v_lshlrev_b64 v[2:3], 3, v[4:5]
	v_lshlrev_b64 v[4:5], 3, v[6:7]
	v_add_co_u32 v2, vcc_lo, s14, v2
	v_add_co_ci_u32_e32 v3, vcc_lo, s15, v3, vcc_lo
	v_add_co_u32 v4, vcc_lo, v2, v4
	v_add_co_ci_u32_e32 v5, vcc_lo, v3, v5, vcc_lo
	global_store_dwordx2 v[4:5], v[0:1], off
	global_load_dwordx2 v[6:7], v101, s[12:13] offset:936
	ds_read2_b64 v[0:3], v101 offset0:117 offset1:234
	v_add_co_u32 v4, vcc_lo, v4, s3
	v_add_co_ci_u32_e32 v5, vcc_lo, s2, v5, vcc_lo
	s_waitcnt vmcnt(0) lgkmcnt(0)
	v_mul_f32_e32 v8, v1, v7
	v_mul_f32_e32 v7, v0, v7
	v_fmac_f32_e32 v8, v0, v6
	v_fma_f32 v6, v6, v1, -v7
	v_cvt_f64_f32_e32 v[0:1], v8
	v_cvt_f64_f32_e32 v[6:7], v6
	v_mul_f64 v[0:1], v[0:1], s[0:1]
	v_mul_f64 v[6:7], v[6:7], s[0:1]
	v_cvt_f32_f64_e32 v0, v[0:1]
	v_cvt_f32_f64_e32 v1, v[6:7]
	global_store_dwordx2 v[4:5], v[0:1], off
	global_load_dwordx2 v[0:1], v101, s[12:13] offset:1872
	v_add_co_u32 v4, vcc_lo, v4, s3
	v_add_co_ci_u32_e32 v5, vcc_lo, s2, v5, vcc_lo
	s_waitcnt vmcnt(0)
	v_mul_f32_e32 v6, v3, v1
	v_mul_f32_e32 v1, v2, v1
	v_fmac_f32_e32 v6, v2, v0
	v_fma_f32 v2, v0, v3, -v1
	v_cvt_f64_f32_e32 v[0:1], v6
	v_cvt_f64_f32_e32 v[2:3], v2
	v_add_co_u32 v6, vcc_lo, 0x800, v10
	v_add_co_ci_u32_e32 v7, vcc_lo, 0, v11, vcc_lo
	v_mul_f64 v[0:1], v[0:1], s[0:1]
	v_mul_f64 v[2:3], v[2:3], s[0:1]
	v_cvt_f32_f64_e32 v0, v[0:1]
	v_cvt_f32_f64_e32 v1, v[2:3]
	global_store_dwordx2 v[4:5], v[0:1], off
	global_load_dwordx2 v[8:9], v[6:7], off offset:760
	v_add_nc_u32_e32 v0, 0x800, v101
	v_add_co_u32 v4, vcc_lo, v4, s3
	v_add_co_ci_u32_e32 v5, vcc_lo, s2, v5, vcc_lo
	ds_read2_b64 v[0:3], v0 offset0:95 offset1:212
	s_waitcnt vmcnt(0) lgkmcnt(0)
	v_mul_f32_e32 v12, v1, v9
	v_mul_f32_e32 v9, v0, v9
	v_fmac_f32_e32 v12, v0, v8
	v_fma_f32 v8, v8, v1, -v9
	v_cvt_f64_f32_e32 v[0:1], v12
	v_cvt_f64_f32_e32 v[8:9], v8
	v_mul_f64 v[0:1], v[0:1], s[0:1]
	v_mul_f64 v[8:9], v[8:9], s[0:1]
	v_cvt_f32_f64_e32 v0, v[0:1]
	v_cvt_f32_f64_e32 v1, v[8:9]
	global_store_dwordx2 v[4:5], v[0:1], off
	global_load_dwordx2 v[0:1], v[6:7], off offset:1696
	v_add_co_u32 v4, vcc_lo, v4, s3
	v_add_co_ci_u32_e32 v5, vcc_lo, s2, v5, vcc_lo
	s_waitcnt vmcnt(0)
	v_mul_f32_e32 v6, v3, v1
	v_mul_f32_e32 v1, v2, v1
	v_fmac_f32_e32 v6, v2, v0
	v_fma_f32 v2, v0, v3, -v1
	v_cvt_f64_f32_e32 v[0:1], v6
	v_cvt_f64_f32_e32 v[2:3], v2
	v_add_co_u32 v6, vcc_lo, 0x1000, v10
	v_add_co_ci_u32_e32 v7, vcc_lo, 0, v11, vcc_lo
	v_mul_f64 v[0:1], v[0:1], s[0:1]
	v_mul_f64 v[2:3], v[2:3], s[0:1]
	v_cvt_f32_f64_e32 v0, v[0:1]
	v_cvt_f32_f64_e32 v1, v[2:3]
	global_store_dwordx2 v[4:5], v[0:1], off
	global_load_dwordx2 v[8:9], v[6:7], off offset:584
	v_add_nc_u32_e32 v0, 0x1000, v101
	v_add_co_u32 v4, vcc_lo, v4, s3
	v_add_co_ci_u32_e32 v5, vcc_lo, s2, v5, vcc_lo
	ds_read2_b64 v[0:3], v0 offset0:73 offset1:190
	s_waitcnt vmcnt(0) lgkmcnt(0)
	v_mul_f32_e32 v12, v1, v9
	v_mul_f32_e32 v9, v0, v9
	v_fmac_f32_e32 v12, v0, v8
	v_fma_f32 v8, v8, v1, -v9
	v_cvt_f64_f32_e32 v[0:1], v12
	v_cvt_f64_f32_e32 v[8:9], v8
	v_mul_f64 v[0:1], v[0:1], s[0:1]
	v_mul_f64 v[8:9], v[8:9], s[0:1]
	v_cvt_f32_f64_e32 v0, v[0:1]
	v_cvt_f32_f64_e32 v1, v[8:9]
	global_store_dwordx2 v[4:5], v[0:1], off
	global_load_dwordx2 v[0:1], v[6:7], off offset:1520
	;; [unrolled: 34-line block ×5, first 2 shown]
	v_add_co_u32 v4, vcc_lo, v4, s3
	v_add_co_ci_u32_e32 v5, vcc_lo, s2, v5, vcc_lo
	s_waitcnt vmcnt(0)
	v_mul_f32_e32 v8, v3, v1
	v_mul_f32_e32 v1, v2, v1
	v_fmac_f32_e32 v8, v2, v0
	v_fma_f32 v2, v0, v3, -v1
	v_cvt_f64_f32_e32 v[0:1], v8
	v_cvt_f64_f32_e32 v[2:3], v2
	v_mul_f64 v[0:1], v[0:1], s[0:1]
	v_mul_f64 v[2:3], v[2:3], s[0:1]
	v_cvt_f32_f64_e32 v0, v[0:1]
	v_cvt_f32_f64_e32 v1, v[2:3]
	global_store_dwordx2 v[4:5], v[0:1], off
	global_load_dwordx2 v[6:7], v[6:7], off offset:1928
	v_add_nc_u32_e32 v0, 0x2c00, v101
	v_add_co_u32 v4, vcc_lo, v4, s3
	v_add_co_ci_u32_e32 v5, vcc_lo, s2, v5, vcc_lo
	ds_read2_b64 v[0:3], v0 offset0:113 offset1:230
	s_waitcnt vmcnt(0) lgkmcnt(0)
	v_mul_f32_e32 v8, v1, v7
	v_mul_f32_e32 v7, v0, v7
	v_fmac_f32_e32 v8, v0, v6
	v_fma_f32 v6, v6, v1, -v7
	v_cvt_f64_f32_e32 v[0:1], v8
	v_cvt_f64_f32_e32 v[6:7], v6
	v_mul_f64 v[0:1], v[0:1], s[0:1]
	v_mul_f64 v[6:7], v[6:7], s[0:1]
	v_cvt_f32_f64_e32 v0, v[0:1]
	v_cvt_f32_f64_e32 v1, v[6:7]
	v_add_co_u32 v6, vcc_lo, 0x3000, v10
	v_add_co_ci_u32_e32 v7, vcc_lo, 0, v11, vcc_lo
	global_store_dwordx2 v[4:5], v[0:1], off
	global_load_dwordx2 v[0:1], v[6:7], off offset:816
	v_add_co_u32 v4, vcc_lo, v4, s3
	v_add_co_ci_u32_e32 v5, vcc_lo, s2, v5, vcc_lo
	s_waitcnt vmcnt(0)
	v_mul_f32_e32 v8, v3, v1
	v_mul_f32_e32 v1, v2, v1
	v_fmac_f32_e32 v8, v2, v0
	v_fma_f32 v2, v0, v3, -v1
	v_cvt_f64_f32_e32 v[0:1], v8
	v_cvt_f64_f32_e32 v[2:3], v2
	v_mul_f64 v[0:1], v[0:1], s[0:1]
	v_mul_f64 v[2:3], v[2:3], s[0:1]
	v_cvt_f32_f64_e32 v0, v[0:1]
	v_cvt_f32_f64_e32 v1, v[2:3]
	global_store_dwordx2 v[4:5], v[0:1], off
	global_load_dwordx2 v[6:7], v[6:7], off offset:1752
	v_add_nc_u32_e32 v0, 0x3400, v101
	v_add_co_u32 v4, vcc_lo, v4, s3
	v_add_co_ci_u32_e32 v5, vcc_lo, s2, v5, vcc_lo
	ds_read2_b64 v[0:3], v0 offset0:91 offset1:208
	s_waitcnt vmcnt(0) lgkmcnt(0)
	v_mul_f32_e32 v8, v1, v7
	v_mul_f32_e32 v7, v0, v7
	v_fmac_f32_e32 v8, v0, v6
	v_fma_f32 v6, v6, v1, -v7
	v_cvt_f64_f32_e32 v[0:1], v8
	v_cvt_f64_f32_e32 v[6:7], v6
	v_mul_f64 v[0:1], v[0:1], s[0:1]
	v_mul_f64 v[6:7], v[6:7], s[0:1]
	v_cvt_f32_f64_e32 v0, v[0:1]
	v_cvt_f32_f64_e32 v1, v[6:7]
	v_add_co_u32 v6, vcc_lo, 0x3800, v10
	v_add_co_ci_u32_e32 v7, vcc_lo, 0, v11, vcc_lo
	global_store_dwordx2 v[4:5], v[0:1], off
	global_load_dwordx2 v[0:1], v[6:7], off offset:640
	s_waitcnt vmcnt(0)
	v_mul_f32_e32 v6, v3, v1
	v_mul_f32_e32 v1, v2, v1
	v_fmac_f32_e32 v6, v2, v0
	v_fma_f32 v2, v0, v3, -v1
	v_cvt_f64_f32_e32 v[0:1], v6
	v_cvt_f64_f32_e32 v[2:3], v2
	v_mul_f64 v[0:1], v[0:1], s[0:1]
	v_mul_f64 v[2:3], v[2:3], s[0:1]
	v_cvt_f32_f64_e32 v0, v[0:1]
	v_cvt_f32_f64_e32 v1, v[2:3]
	v_add_co_u32 v2, vcc_lo, v4, s3
	v_add_co_ci_u32_e32 v3, vcc_lo, s2, v5, vcc_lo
	global_store_dwordx2 v[2:3], v[0:1], off
.LBB0_23:
	s_endpgm
	.section	.rodata,"a",@progbits
	.p2align	6, 0x0
	.amdhsa_kernel bluestein_single_fwd_len1989_dim1_sp_op_CI_CI
		.amdhsa_group_segment_fixed_size 15912
		.amdhsa_private_segment_fixed_size 0
		.amdhsa_kernarg_size 104
		.amdhsa_user_sgpr_count 6
		.amdhsa_user_sgpr_private_segment_buffer 1
		.amdhsa_user_sgpr_dispatch_ptr 0
		.amdhsa_user_sgpr_queue_ptr 0
		.amdhsa_user_sgpr_kernarg_segment_ptr 1
		.amdhsa_user_sgpr_dispatch_id 0
		.amdhsa_user_sgpr_flat_scratch_init 0
		.amdhsa_user_sgpr_private_segment_size 0
		.amdhsa_wavefront_size32 1
		.amdhsa_uses_dynamic_stack 0
		.amdhsa_system_sgpr_private_segment_wavefront_offset 0
		.amdhsa_system_sgpr_workgroup_id_x 1
		.amdhsa_system_sgpr_workgroup_id_y 0
		.amdhsa_system_sgpr_workgroup_id_z 0
		.amdhsa_system_sgpr_workgroup_info 0
		.amdhsa_system_vgpr_workitem_id 0
		.amdhsa_next_free_vgpr 236
		.amdhsa_next_free_sgpr 16
		.amdhsa_reserve_vcc 1
		.amdhsa_reserve_flat_scratch 0
		.amdhsa_float_round_mode_32 0
		.amdhsa_float_round_mode_16_64 0
		.amdhsa_float_denorm_mode_32 3
		.amdhsa_float_denorm_mode_16_64 3
		.amdhsa_dx10_clamp 1
		.amdhsa_ieee_mode 1
		.amdhsa_fp16_overflow 0
		.amdhsa_workgroup_processor_mode 1
		.amdhsa_memory_ordered 1
		.amdhsa_forward_progress 0
		.amdhsa_shared_vgpr_count 0
		.amdhsa_exception_fp_ieee_invalid_op 0
		.amdhsa_exception_fp_denorm_src 0
		.amdhsa_exception_fp_ieee_div_zero 0
		.amdhsa_exception_fp_ieee_overflow 0
		.amdhsa_exception_fp_ieee_underflow 0
		.amdhsa_exception_fp_ieee_inexact 0
		.amdhsa_exception_int_div_zero 0
	.end_amdhsa_kernel
	.text
.Lfunc_end0:
	.size	bluestein_single_fwd_len1989_dim1_sp_op_CI_CI, .Lfunc_end0-bluestein_single_fwd_len1989_dim1_sp_op_CI_CI
                                        ; -- End function
	.section	.AMDGPU.csdata,"",@progbits
; Kernel info:
; codeLenInByte = 25160
; NumSgprs: 18
; NumVgprs: 236
; ScratchSize: 0
; MemoryBound: 0
; FloatMode: 240
; IeeeMode: 1
; LDSByteSize: 15912 bytes/workgroup (compile time only)
; SGPRBlocks: 2
; VGPRBlocks: 29
; NumSGPRsForWavesPerEU: 18
; NumVGPRsForWavesPerEU: 236
; Occupancy: 4
; WaveLimiterHint : 1
; COMPUTE_PGM_RSRC2:SCRATCH_EN: 0
; COMPUTE_PGM_RSRC2:USER_SGPR: 6
; COMPUTE_PGM_RSRC2:TRAP_HANDLER: 0
; COMPUTE_PGM_RSRC2:TGID_X_EN: 1
; COMPUTE_PGM_RSRC2:TGID_Y_EN: 0
; COMPUTE_PGM_RSRC2:TGID_Z_EN: 0
; COMPUTE_PGM_RSRC2:TIDIG_COMP_CNT: 0
	.text
	.p2alignl 6, 3214868480
	.fill 48, 4, 3214868480
	.type	__hip_cuid_a86642fbdab0ef58,@object ; @__hip_cuid_a86642fbdab0ef58
	.section	.bss,"aw",@nobits
	.globl	__hip_cuid_a86642fbdab0ef58
__hip_cuid_a86642fbdab0ef58:
	.byte	0                               ; 0x0
	.size	__hip_cuid_a86642fbdab0ef58, 1

	.ident	"AMD clang version 19.0.0git (https://github.com/RadeonOpenCompute/llvm-project roc-6.4.0 25133 c7fe45cf4b819c5991fe208aaa96edf142730f1d)"
	.section	".note.GNU-stack","",@progbits
	.addrsig
	.addrsig_sym __hip_cuid_a86642fbdab0ef58
	.amdgpu_metadata
---
amdhsa.kernels:
  - .args:
      - .actual_access:  read_only
        .address_space:  global
        .offset:         0
        .size:           8
        .value_kind:     global_buffer
      - .actual_access:  read_only
        .address_space:  global
        .offset:         8
        .size:           8
        .value_kind:     global_buffer
      - .actual_access:  read_only
        .address_space:  global
        .offset:         16
        .size:           8
        .value_kind:     global_buffer
      - .actual_access:  read_only
        .address_space:  global
        .offset:         24
        .size:           8
        .value_kind:     global_buffer
      - .actual_access:  read_only
        .address_space:  global
        .offset:         32
        .size:           8
        .value_kind:     global_buffer
      - .offset:         40
        .size:           8
        .value_kind:     by_value
      - .address_space:  global
        .offset:         48
        .size:           8
        .value_kind:     global_buffer
      - .address_space:  global
        .offset:         56
        .size:           8
        .value_kind:     global_buffer
      - .address_space:  global
        .offset:         64
        .size:           8
        .value_kind:     global_buffer
      - .address_space:  global
        .offset:         72
        .size:           8
        .value_kind:     global_buffer
      - .offset:         80
        .size:           4
        .value_kind:     by_value
      - .address_space:  global
        .offset:         88
        .size:           8
        .value_kind:     global_buffer
      - .address_space:  global
        .offset:         96
        .size:           8
        .value_kind:     global_buffer
    .group_segment_fixed_size: 15912
    .kernarg_segment_align: 8
    .kernarg_segment_size: 104
    .language:       OpenCL C
    .language_version:
      - 2
      - 0
    .max_flat_workgroup_size: 153
    .name:           bluestein_single_fwd_len1989_dim1_sp_op_CI_CI
    .private_segment_fixed_size: 0
    .sgpr_count:     18
    .sgpr_spill_count: 0
    .symbol:         bluestein_single_fwd_len1989_dim1_sp_op_CI_CI.kd
    .uniform_work_group_size: 1
    .uses_dynamic_stack: false
    .vgpr_count:     236
    .vgpr_spill_count: 0
    .wavefront_size: 32
    .workgroup_processor_mode: 1
amdhsa.target:   amdgcn-amd-amdhsa--gfx1030
amdhsa.version:
  - 1
  - 2
...

	.end_amdgpu_metadata
